;; amdgpu-corpus repo=ROCm/rocFFT kind=compiled arch=gfx950 opt=O3
	.text
	.amdgcn_target "amdgcn-amd-amdhsa--gfx950"
	.amdhsa_code_object_version 6
	.protected	bluestein_single_back_len1700_dim1_dp_op_CI_CI ; -- Begin function bluestein_single_back_len1700_dim1_dp_op_CI_CI
	.globl	bluestein_single_back_len1700_dim1_dp_op_CI_CI
	.p2align	8
	.type	bluestein_single_back_len1700_dim1_dp_op_CI_CI,@function
bluestein_single_back_len1700_dim1_dp_op_CI_CI: ; @bluestein_single_back_len1700_dim1_dp_op_CI_CI
; %bb.0:
	s_load_dwordx4 s[8:11], s[0:1], 0x28
	v_mul_u32_u24_e32 v1, 0x182, v0
	v_add_u32_sdwa v254, s2, v1 dst_sel:DWORD dst_unused:UNUSED_PAD src0_sel:DWORD src1_sel:WORD_1
	v_mov_b32_e32 v255, 0
	s_waitcnt lgkmcnt(0)
	v_cmp_gt_u64_e32 vcc, s[8:9], v[254:255]
	s_and_saveexec_b64 s[2:3], vcc
	s_cbranch_execz .LBB0_15
; %bb.1:
	s_load_dwordx2 s[8:9], s[0:1], 0x0
	s_load_dwordx2 s[12:13], s[0:1], 0x38
	s_movk_i32 s2, 0xaa
	v_mul_lo_u16_sdwa v1, v1, s2 dst_sel:DWORD dst_unused:UNUSED_PAD src0_sel:WORD_1 src1_sel:DWORD
	v_sub_u16_e32 v193, v0, v1
	s_movk_i32 s2, 0x64
	v_cmp_gt_u16_e64 s[2:3], s2, v193
	v_lshlrev_b32_e32 v192, 4, v193
	s_and_saveexec_b64 s[14:15], s[2:3]
	s_cbranch_execz .LBB0_3
; %bb.2:
	s_load_dwordx2 s[4:5], s[0:1], 0x18
	v_mov_b32_e32 v0, s10
	v_mov_b32_e32 v1, s11
	;; [unrolled: 1-line block ×4, first 2 shown]
	s_waitcnt lgkmcnt(0)
	s_load_dwordx4 s[4:7], s[4:5], 0x0
	s_waitcnt lgkmcnt(0)
	v_mad_u64_u32 v[2:3], s[10:11], s6, v254, 0
	v_mad_u64_u32 v[4:5], s[10:11], s4, v193, 0
	v_mov_b32_e32 v6, v3
	v_mov_b32_e32 v8, v5
	v_mad_u64_u32 v[6:7], s[6:7], s7, v254, v[6:7]
	v_mov_b32_e32 v3, v6
	v_mad_u64_u32 v[6:7], s[6:7], s5, v193, v[8:9]
	v_mov_b32_e32 v193, 0
	s_movk_i32 s6, 0x1000
	v_lshl_add_u64 v[136:137], s[8:9], 0, v[192:193]
	v_add_co_u32_e32 v52, vcc, s6, v136
	s_movk_i32 s7, 0x2000
	s_nop 0
	v_addc_co_u32_e32 v53, vcc, 0, v137, vcc
	v_mov_b32_e32 v5, v6
	v_lshl_add_u64 v[0:1], v[2:3], 4, v[0:1]
	v_add_co_u32_e32 v54, vcc, s7, v136
	v_lshl_add_u64 v[16:17], v[4:5], 4, v[0:1]
	s_movk_i32 s10, 0x3000
	v_addc_co_u32_e32 v55, vcc, 0, v137, vcc
	global_load_dwordx4 v[0:3], v[16:17], off
	global_load_dwordx4 v[4:7], v192, s[8:9]
	v_add_co_u32_e32 v56, vcc, s10, v136
	s_mul_i32 s10, s5, 0x640
	v_mad_u64_u32 v[16:17], s[6:7], s4, v18, v[16:17]
	v_add_u32_e32 v17, s10, v17
	v_mad_u64_u32 v[60:61], s[6:7], s4, v18, v[16:17]
	v_addc_co_u32_e32 v57, vcc, 0, v137, vcc
	v_add_u32_e32 v61, s10, v61
	global_load_dwordx4 v[8:11], v192, s[8:9] offset:1600
	global_load_dwordx4 v[12:15], v192, s[8:9] offset:3200
	global_load_dwordx4 v[20:23], v[52:53], off offset:704
	global_load_dwordx4 v[24:27], v[52:53], off offset:2304
	global_load_dwordx4 v[28:31], v[52:53], off offset:3904
	global_load_dwordx4 v[32:35], v[54:55], off offset:1408
	global_load_dwordx4 v[36:39], v[54:55], off offset:3008
	global_load_dwordx4 v[40:43], v[56:57], off offset:512
	global_load_dwordx4 v[44:47], v[56:57], off offset:2112
	global_load_dwordx4 v[48:51], v[56:57], off offset:3712
	s_nop 0
	global_load_dwordx4 v[52:55], v[16:17], off
	global_load_dwordx4 v[56:59], v[60:61], off
	v_mad_u64_u32 v[16:17], s[6:7], s4, v18, v[60:61]
	v_add_u32_e32 v17, s10, v17
	v_mad_u64_u32 v[68:69], s[6:7], s4, v18, v[16:17]
	v_add_u32_e32 v69, s10, v69
	global_load_dwordx4 v[60:63], v[16:17], off
	global_load_dwordx4 v[64:67], v[68:69], off
	v_mad_u64_u32 v[16:17], s[6:7], s4, v18, v[68:69]
	v_add_u32_e32 v17, s10, v17
	global_load_dwordx4 v[68:71], v[16:17], off
	v_mad_u64_u32 v[16:17], s[6:7], s4, v18, v[16:17]
	v_add_u32_e32 v17, s10, v17
	;; [unrolled: 3-line block ×6, first 2 shown]
	v_mad_u64_u32 v[96:97], s[6:7], s4, v18, v[16:17]
	v_add_u32_e32 v97, s10, v97
	global_load_dwordx4 v[88:91], v[16:17], off
	v_mad_u64_u32 v[110:111], s[6:7], s4, v18, v[96:97]
	s_movk_i32 s11, 0x4000
	v_add_u32_e32 v111, s10, v111
	global_load_dwordx4 v[92:95], v[96:97], off
	v_add_co_u32_e32 v108, vcc, s11, v136
	v_mad_u64_u32 v[112:113], s[6:7], s4, v18, v[110:111]
	s_nop 0
	v_addc_co_u32_e32 v109, vcc, 0, v137, vcc
	global_load_dwordx4 v[96:99], v[110:111], off
	global_load_dwordx4 v[100:103], v[108:109], off offset:1216
	global_load_dwordx4 v[104:107], v[108:109], off offset:2816
	v_add_u32_e32 v113, s10, v113
	v_mad_u64_u32 v[124:125], s[6:7], s4, v18, v[112:113]
	s_movk_i32 s5, 0x5000
	v_add_u32_e32 v125, s10, v125
	global_load_dwordx4 v[108:111], v[112:113], off
	v_add_co_u32_e32 v128, vcc, s5, v136
	v_mad_u64_u32 v[132:133], s[6:7], s4, v18, v[124:125]
	s_nop 0
	v_addc_co_u32_e32 v129, vcc, 0, v137, vcc
	global_load_dwordx4 v[112:115], v[124:125], off
	global_load_dwordx4 v[116:119], v[128:129], off offset:320
	global_load_dwordx4 v[120:123], v[128:129], off offset:1920
	v_add_u32_e32 v133, s10, v133
	v_mov_b32_e32 v193, v19
	v_mad_u64_u32 v[18:19], s[4:5], s4, v18, v[132:133]
	v_add_u32_e32 v19, s10, v19
	s_movk_i32 s4, 0x6000
	global_load_dwordx4 v[124:127], v[132:133], off
	s_nop 0
	global_load_dwordx4 v[128:131], v[128:129], off offset:3520
	s_waitcnt vmcnt(30)
	v_mul_f64 v[16:17], v[2:3], v[6:7]
	global_load_dwordx4 v[132:135], v[18:19], off
	v_add_co_u32_e32 v18, vcc, s4, v136
	v_mul_f64 v[6:7], v[0:1], v[6:7]
	s_nop 0
	v_addc_co_u32_e32 v19, vcc, 0, v137, vcc
	global_load_dwordx4 v[136:139], v[18:19], off offset:1024
	v_fmac_f64_e32 v[16:17], v[0:1], v[4:5]
	v_fma_f64 v[18:19], v[2:3], v[4:5], -v[6:7]
	ds_write_b128 v192, v[16:19]
	s_waitcnt vmcnt(21)
	v_mul_f64 v[0:1], v[54:55], v[10:11]
	v_mul_f64 v[2:3], v[52:53], v[10:11]
	v_fmac_f64_e32 v[0:1], v[52:53], v[8:9]
	v_fma_f64 v[2:3], v[54:55], v[8:9], -v[2:3]
	ds_write_b128 v192, v[0:3] offset:1600
	s_waitcnt vmcnt(20)
	v_mul_f64 v[0:1], v[58:59], v[14:15]
	v_mul_f64 v[2:3], v[56:57], v[14:15]
	v_fmac_f64_e32 v[0:1], v[56:57], v[12:13]
	v_fma_f64 v[2:3], v[58:59], v[12:13], -v[2:3]
	ds_write_b128 v192, v[0:3] offset:3200
	;; [unrolled: 6-line block ×16, first 2 shown]
.LBB0_3:
	s_or_b64 exec, exec, s[14:15]
	s_load_dwordx2 s[4:5], s[0:1], 0x20
	s_load_dwordx2 s[10:11], s[0:1], 0x8
	s_waitcnt lgkmcnt(0)
	s_barrier
	s_waitcnt lgkmcnt(0)
                                        ; implicit-def: $vgpr28_vgpr29
                                        ; implicit-def: $vgpr32_vgpr33
                                        ; implicit-def: $vgpr36_vgpr37
                                        ; implicit-def: $vgpr40_vgpr41
                                        ; implicit-def: $vgpr44_vgpr45
                                        ; implicit-def: $vgpr48_vgpr49
                                        ; implicit-def: $vgpr52_vgpr53
                                        ; implicit-def: $vgpr56_vgpr57
                                        ; implicit-def: $vgpr60_vgpr61
                                        ; implicit-def: $vgpr64_vgpr65
                                        ; implicit-def: $vgpr68_vgpr69
                                        ; implicit-def: $vgpr72_vgpr73
                                        ; implicit-def: $vgpr76_vgpr77
                                        ; implicit-def: $vgpr80_vgpr81
                                        ; implicit-def: $vgpr84_vgpr85
                                        ; implicit-def: $vgpr88_vgpr89
                                        ; implicit-def: $vgpr92_vgpr93
	s_and_saveexec_b64 s[0:1], s[2:3]
	s_cbranch_execz .LBB0_5
; %bb.4:
	ds_read_b128 v[28:31], v192
	ds_read_b128 v[32:35], v192 offset:1600
	ds_read_b128 v[36:39], v192 offset:3200
	;; [unrolled: 1-line block ×16, first 2 shown]
.LBB0_5:
	s_or_b64 exec, exec, s[0:1]
	s_mov_b32 s26, 0x5d8e7cdc
	s_waitcnt lgkmcnt(0)
	v_add_f64 v[96:97], v[34:35], -v[94:95]
	s_mov_b32 s0, 0x370991
	s_mov_b32 s27, 0xbfd71e95
	;; [unrolled: 1-line block ×3, first 2 shown]
	v_add_f64 v[128:129], v[32:33], v[92:93]
	s_mov_b32 s1, 0x3fedd6d0
	v_mul_f64 v[126:127], v[96:97], s[26:27]
	s_mov_b32 s6, 0x75d4884
	s_mov_b32 s29, 0xbfe58eea
	v_add_f64 v[98:99], v[38:39], -v[90:91]
	v_add_f64 v[100:101], v[32:33], -v[92:93]
	v_fma_f64 v[0:1], s[0:1], v[128:129], v[126:127]
	s_mov_b32 s7, 0x3fe7a5f6
	v_add_f64 v[140:141], v[36:37], v[88:89]
	v_mul_f64 v[134:135], v[98:99], s[28:29]
	v_add_f64 v[130:131], v[34:35], v[94:95]
	v_mul_f64 v[132:133], v[100:101], s[26:27]
	v_add_f64 v[0:1], v[28:29], v[0:1]
	v_fma_f64 v[2:3], s[6:7], v[140:141], v[134:135]
	v_add_f64 v[102:103], v[36:37], -v[88:89]
	s_mov_b32 s34, 0x7c9e640b
	v_add_f64 v[0:1], v[2:3], v[0:1]
	v_fma_f64 v[2:3], v[130:131], s[0:1], -v[132:133]
	v_add_f64 v[142:143], v[38:39], v[90:91]
	v_mul_f64 v[136:137], v[102:103], s[28:29]
	s_mov_b32 s14, 0x2b2883cd
	s_mov_b32 s35, 0xbfeca52d
	v_add_f64 v[106:107], v[42:43], -v[86:87]
	v_add_f64 v[2:3], v[30:31], v[2:3]
	v_fma_f64 v[4:5], v[142:143], s[6:7], -v[136:137]
	s_mov_b32 s15, 0x3fdc86fa
	v_add_f64 v[146:147], v[40:41], v[84:85]
	v_mul_f64 v[138:139], v[106:107], s[34:35]
	v_add_f64 v[104:105], v[40:41], -v[84:85]
	v_add_f64 v[2:3], v[4:5], v[2:3]
	v_fma_f64 v[4:5], s[14:15], v[146:147], v[138:139]
	v_add_f64 v[150:151], v[42:43], v[86:87]
	v_mul_f64 v[144:145], v[104:105], s[34:35]
	s_mov_b32 s36, 0xeb564b22
	v_add_f64 v[0:1], v[4:5], v[0:1]
	v_fma_f64 v[4:5], v[150:151], s[14:15], -v[144:145]
	s_mov_b32 s37, 0xbfefdd0d
	v_add_f64 v[110:111], v[46:47], -v[82:83]
	v_add_f64 v[2:3], v[4:5], v[2:3]
	s_mov_b32 s16, 0x3259b75e
	v_mul_f64 v[4:5], v[110:111], s[36:37]
	s_mov_b32 s17, 0x3fb79ee6
	v_add_f64 v[154:155], v[44:45], v[80:81]
	v_accvgpr_write_b32 a31, v5
	v_accvgpr_write_b32 a30, v4
	v_fma_f64 v[4:5], s[16:17], v[154:155], v[4:5]
	v_add_f64 v[108:109], v[44:45], -v[80:81]
	v_add_f64 v[0:1], v[4:5], v[0:1]
	v_mul_f64 v[4:5], v[108:109], s[36:37]
	v_add_f64 v[156:157], v[46:47], v[82:83]
	v_accvgpr_write_b32 a33, v5
	s_mov_b32 s38, 0x923c349f
	v_accvgpr_write_b32 a32, v4
	v_fma_f64 v[4:5], v[156:157], s[16:17], -v[4:5]
	s_mov_b32 s39, 0xbfeec746
	v_add_f64 v[114:115], v[50:51], -v[78:79]
	v_add_f64 v[2:3], v[4:5], v[2:3]
	s_mov_b32 s18, 0xc61f0d01
	v_mul_f64 v[4:5], v[114:115], s[38:39]
	s_mov_b32 s19, 0xbfd183b1
	v_add_f64 v[160:161], v[48:49], v[76:77]
	v_accvgpr_write_b32 a35, v5
	v_accvgpr_write_b32 a34, v4
	v_fma_f64 v[4:5], s[18:19], v[160:161], v[4:5]
	v_add_f64 v[112:113], v[48:49], -v[76:77]
	v_add_f64 v[0:1], v[4:5], v[0:1]
	v_mul_f64 v[4:5], v[112:113], s[38:39]
	v_add_f64 v[164:165], v[50:51], v[78:79]
	v_accvgpr_write_b32 a37, v5
	s_mov_b32 s40, 0x6c9a05f6
	v_accvgpr_write_b32 a36, v4
	;; [unrolled: 18-line block ×4, first 2 shown]
	v_fma_f64 v[4:5], v[178:179], s[22:23], -v[4:5]
	s_mov_b32 s45, 0xbfc7851a
	v_add_f64 v[188:189], v[62:63], -v[66:67]
	v_add_f64 v[2:3], v[4:5], v[2:3]
	s_mov_b32 s24, 0x7faef3
	v_mul_f64 v[4:5], v[188:189], s[44:45]
	s_mov_b32 s25, 0xbfef7484
	v_add_f64 v[190:191], v[60:61], v[64:65]
	v_accvgpr_write_b32 a47, v5
	v_accvgpr_write_b32 a46, v4
	v_fma_f64 v[4:5], s[24:25], v[190:191], v[4:5]
	v_add_f64 v[186:187], v[60:61], -v[64:65]
	v_add_f64 v[4:5], v[4:5], v[0:1]
	v_mul_f64 v[0:1], v[186:187], s[44:45]
	v_add_f64 v[200:201], v[62:63], v[66:67]
	v_accvgpr_write_b32 a49, v1
	v_accvgpr_write_b32 a48, v0
	v_fma_f64 v[0:1], v[200:201], s[24:25], -v[0:1]
	v_add_f64 v[6:7], v[0:1], v[2:3]
	v_mul_f64 v[0:1], v[96:97], s[28:29]
	v_accvgpr_write_b32 a51, v1
	v_mul_f64 v[2:3], v[98:99], s[36:37]
	v_accvgpr_write_b32 a50, v0
	v_fma_f64 v[0:1], s[6:7], v[128:129], v[0:1]
	v_accvgpr_write_b32 a53, v3
	v_add_f64 v[0:1], v[28:29], v[0:1]
	v_accvgpr_write_b32 a52, v2
	v_fma_f64 v[2:3], s[16:17], v[140:141], v[2:3]
	v_accvgpr_write_b32 a2, v4
	v_add_f64 v[0:1], v[2:3], v[0:1]
	v_mul_f64 v[2:3], v[100:101], s[28:29]
	v_accvgpr_write_b32 a3, v5
	v_accvgpr_write_b32 a4, v6
	;; [unrolled: 1-line block ×4, first 2 shown]
	v_mul_f64 v[4:5], v[102:103], s[36:37]
	v_accvgpr_write_b32 a58, v2
	v_fma_f64 v[2:3], v[130:131], s[6:7], -v[2:3]
	v_accvgpr_write_b32 a61, v5
	v_add_f64 v[2:3], v[30:31], v[2:3]
	v_accvgpr_write_b32 a60, v4
	v_fma_f64 v[4:5], v[142:143], s[16:17], -v[4:5]
	v_add_f64 v[2:3], v[4:5], v[2:3]
	v_mul_f64 v[4:5], v[106:107], s[40:41]
	v_accvgpr_write_b32 a55, v5
	v_accvgpr_write_b32 a54, v4
	v_fma_f64 v[4:5], s[20:21], v[146:147], v[4:5]
	v_add_f64 v[0:1], v[4:5], v[0:1]
	v_mul_f64 v[4:5], v[104:105], s[40:41]
	v_accvgpr_write_b32 a65, v5
	v_accvgpr_write_b32 a64, v4
	v_fma_f64 v[4:5], v[150:151], s[20:21], -v[4:5]
	v_add_f64 v[2:3], v[4:5], v[2:3]
	v_mul_f64 v[4:5], v[110:111], s[44:45]
	v_accvgpr_write_b32 a57, v5
	v_accvgpr_write_b32 a56, v4
	v_fma_f64 v[4:5], s[24:25], v[154:155], v[4:5]
	v_add_f64 v[0:1], v[4:5], v[0:1]
	v_mul_f64 v[4:5], v[108:109], s[44:45]
	v_accvgpr_write_b32 a69, v5
	v_accvgpr_write_b32 a68, v4
	v_fma_f64 v[4:5], v[156:157], s[24:25], -v[4:5]
	s_mov_b32 s55, 0x3fe0d888
	s_mov_b32 s54, s42
	v_add_f64 v[2:3], v[4:5], v[2:3]
	v_mul_f64 v[4:5], v[114:115], s[54:55]
	v_accvgpr_write_b32 a63, v5
	v_accvgpr_write_b32 a62, v4
	v_fma_f64 v[4:5], s[22:23], v[160:161], v[4:5]
	v_add_f64 v[0:1], v[4:5], v[0:1]
	v_mul_f64 v[4:5], v[112:113], s[54:55]
	v_accvgpr_write_b32 a73, v5
	v_accvgpr_write_b32 a72, v4
	v_fma_f64 v[4:5], v[164:165], s[22:23], -v[4:5]
	s_mov_b32 s53, 0x3feec746
	s_mov_b32 s52, s38
	;; [unrolled: 12-line block ×4, first 2 shown]
	v_add_f64 v[2:3], v[4:5], v[2:3]
	v_mul_f64 v[4:5], v[188:189], s[48:49]
	v_accvgpr_write_b32 a75, v5
	v_accvgpr_write_b32 a74, v4
	v_fma_f64 v[4:5], s[0:1], v[190:191], v[4:5]
	v_add_f64 v[4:5], v[4:5], v[0:1]
	v_mul_f64 v[0:1], v[186:187], s[48:49]
	v_accvgpr_write_b32 a81, v1
	v_accvgpr_write_b32 a80, v0
	v_fma_f64 v[0:1], v[200:201], s[0:1], -v[0:1]
	v_add_f64 v[6:7], v[0:1], v[2:3]
	v_mul_f64 v[0:1], v[96:97], s[34:35]
	v_accvgpr_write_b32 a83, v1
	v_mul_f64 v[2:3], v[98:99], s[40:41]
	v_accvgpr_write_b32 a82, v0
	v_fma_f64 v[0:1], s[14:15], v[128:129], v[0:1]
	v_accvgpr_write_b32 a85, v3
	v_add_f64 v[0:1], v[28:29], v[0:1]
	v_accvgpr_write_b32 a84, v2
	v_fma_f64 v[2:3], s[20:21], v[140:141], v[2:3]
	v_accvgpr_write_b32 a9, v7
	v_add_f64 v[0:1], v[2:3], v[0:1]
	v_mul_f64 v[2:3], v[100:101], s[34:35]
	v_accvgpr_write_b32 a8, v6
	v_accvgpr_write_b32 a7, v5
	;; [unrolled: 1-line block ×4, first 2 shown]
	v_mul_f64 v[4:5], v[102:103], s[40:41]
	v_accvgpr_write_b32 a96, v2
	v_fma_f64 v[2:3], v[130:131], s[14:15], -v[2:3]
	v_accvgpr_write_b32 a101, v5
	v_add_f64 v[2:3], v[30:31], v[2:3]
	v_accvgpr_write_b32 a100, v4
	v_fma_f64 v[4:5], v[142:143], s[20:21], -v[4:5]
	s_mov_b32 s57, 0x3fc7851a
	s_mov_b32 s56, s44
	v_add_f64 v[2:3], v[4:5], v[2:3]
	v_mul_f64 v[4:5], v[106:107], s[56:57]
	v_accvgpr_write_b32 a87, v5
	v_accvgpr_write_b32 a86, v4
	v_fma_f64 v[4:5], s[24:25], v[146:147], v[4:5]
	v_add_f64 v[0:1], v[4:5], v[0:1]
	v_mul_f64 v[4:5], v[104:105], s[56:57]
	v_accvgpr_write_b32 a103, v5
	v_accvgpr_write_b32 a102, v4
	v_fma_f64 v[4:5], v[150:151], s[24:25], -v[4:5]
	v_add_f64 v[2:3], v[4:5], v[2:3]
	v_mul_f64 v[4:5], v[110:111], s[52:53]
	v_accvgpr_write_b32 a89, v5
	v_accvgpr_write_b32 a88, v4
	v_fma_f64 v[4:5], s[18:19], v[154:155], v[4:5]
	v_add_f64 v[0:1], v[4:5], v[0:1]
	v_mul_f64 v[4:5], v[108:109], s[52:53]
	v_accvgpr_write_b32 a105, v5
	v_accvgpr_write_b32 a104, v4
	v_fma_f64 v[4:5], v[156:157], s[18:19], -v[4:5]
	s_mov_b32 s51, 0x3fe58eea
	s_mov_b32 s50, s28
	v_add_f64 v[2:3], v[4:5], v[2:3]
	v_mul_f64 v[4:5], v[114:115], s[50:51]
	v_accvgpr_write_b32 a91, v5
	v_accvgpr_write_b32 a90, v4
	v_fma_f64 v[4:5], s[6:7], v[160:161], v[4:5]
	v_add_f64 v[0:1], v[4:5], v[0:1]
	v_mul_f64 v[4:5], v[112:113], s[50:51]
	v_accvgpr_write_b32 a107, v5
	v_accvgpr_write_b32 a106, v4
	v_fma_f64 v[4:5], v[164:165], s[6:7], -v[4:5]
	v_add_f64 v[2:3], v[4:5], v[2:3]
	v_mul_f64 v[4:5], v[124:125], s[26:27]
	v_accvgpr_write_b32 a93, v5
	v_accvgpr_write_b32 a92, v4
	v_fma_f64 v[4:5], s[0:1], v[168:169], v[4:5]
	v_add_f64 v[0:1], v[4:5], v[0:1]
	v_mul_f64 v[4:5], v[250:251], s[26:27]
	v_accvgpr_write_b32 a109, v5
	v_accvgpr_write_b32 a108, v4
	v_fma_f64 v[4:5], v[170:171], s[0:1], -v[4:5]
	;; [unrolled: 10-line block ×4, first 2 shown]
	v_add_f64 v[6:7], v[0:1], v[2:3]
	v_mul_f64 v[0:1], v[96:97], s[36:37]
	v_accvgpr_write_b32 a115, v1
	v_mul_f64 v[2:3], v[98:99], s[44:45]
	v_accvgpr_write_b32 a114, v0
	v_fma_f64 v[0:1], s[16:17], v[128:129], v[0:1]
	v_accvgpr_write_b32 a117, v3
	v_add_f64 v[0:1], v[28:29], v[0:1]
	v_accvgpr_write_b32 a116, v2
	v_fma_f64 v[2:3], s[24:25], v[140:141], v[2:3]
	v_accvgpr_write_b32 a13, v7
	v_add_f64 v[0:1], v[2:3], v[0:1]
	v_mul_f64 v[2:3], v[100:101], s[36:37]
	v_accvgpr_write_b32 a12, v6
	v_accvgpr_write_b32 a11, v5
	;; [unrolled: 1-line block ×4, first 2 shown]
	v_mul_f64 v[4:5], v[102:103], s[44:45]
	v_accvgpr_write_b32 a122, v2
	v_fma_f64 v[2:3], v[130:131], s[16:17], -v[2:3]
	v_accvgpr_write_b32 a127, v5
	v_add_f64 v[2:3], v[30:31], v[2:3]
	v_accvgpr_write_b32 a126, v4
	v_fma_f64 v[4:5], v[142:143], s[24:25], -v[4:5]
	v_add_f64 v[2:3], v[4:5], v[2:3]
	v_mul_f64 v[4:5], v[106:107], s[52:53]
	v_accvgpr_write_b32 a119, v5
	v_accvgpr_write_b32 a118, v4
	v_fma_f64 v[4:5], s[18:19], v[146:147], v[4:5]
	v_add_f64 v[0:1], v[4:5], v[0:1]
	v_mul_f64 v[4:5], v[104:105], s[52:53]
	v_accvgpr_write_b32 a131, v5
	v_accvgpr_write_b32 a130, v4
	v_fma_f64 v[4:5], v[150:151], s[18:19], -v[4:5]
	v_add_f64 v[2:3], v[4:5], v[2:3]
	v_mul_f64 v[4:5], v[110:111], s[48:49]
	v_accvgpr_write_b32 a121, v5
	v_accvgpr_write_b32 a120, v4
	v_fma_f64 v[4:5], s[0:1], v[154:155], v[4:5]
	v_add_f64 v[0:1], v[4:5], v[0:1]
	v_mul_f64 v[4:5], v[108:109], s[48:49]
	v_accvgpr_write_b32 a135, v5
	;; [unrolled: 10-line block ×4, first 2 shown]
	v_accvgpr_write_b32 a140, v4
	v_fma_f64 v[4:5], v[170:171], s[22:23], -v[4:5]
	s_mov_b32 s61, 0x3fe9895b
	s_mov_b32 s60, s40
	v_add_f64 v[2:3], v[4:5], v[2:3]
	v_mul_f64 v[4:5], v[162:163], s[60:61]
	v_accvgpr_write_b32 a133, v5
	v_accvgpr_write_b32 a132, v4
	v_fma_f64 v[4:5], s[20:21], v[174:175], v[4:5]
	v_mul_f64 v[148:149], v[152:153], s[60:61]
	v_add_f64 v[0:1], v[4:5], v[0:1]
	v_fma_f64 v[4:5], v[178:179], s[20:21], -v[148:149]
	v_add_f64 v[2:3], v[4:5], v[2:3]
	v_mul_f64 v[4:5], v[188:189], s[50:51]
	v_accvgpr_write_b32 a137, v5
	v_accvgpr_write_b32 a136, v4
	v_fma_f64 v[4:5], s[6:7], v[190:191], v[4:5]
	v_mul_f64 v[158:159], v[186:187], s[50:51]
	v_add_f64 v[4:5], v[4:5], v[0:1]
	v_fma_f64 v[0:1], v[200:201], s[6:7], -v[158:159]
	v_mul_f64 v[166:167], v[96:97], s[38:39]
	v_add_f64 v[6:7], v[0:1], v[2:3]
	v_fma_f64 v[0:1], s[18:19], v[128:129], v[166:167]
	v_mul_f64 v[172:173], v[98:99], s[54:55]
	v_add_f64 v[0:1], v[28:29], v[0:1]
	v_fma_f64 v[2:3], s[22:23], v[140:141], v[172:173]
	v_mul_f64 v[182:183], v[100:101], s[38:39]
	v_accvgpr_write_b32 a17, v7
	v_add_f64 v[0:1], v[2:3], v[0:1]
	v_fma_f64 v[2:3], v[130:131], s[18:19], -v[182:183]
	v_mul_f64 v[196:197], v[102:103], s[54:55]
	v_accvgpr_write_b32 a16, v6
	v_accvgpr_write_b32 a15, v5
	;; [unrolled: 1-line block ×3, first 2 shown]
	v_add_f64 v[2:3], v[30:31], v[2:3]
	v_fma_f64 v[4:5], v[142:143], s[22:23], -v[196:197]
	v_mul_f64 v[176:177], v[106:107], s[50:51]
	v_add_f64 v[2:3], v[4:5], v[2:3]
	v_fma_f64 v[4:5], s[6:7], v[146:147], v[176:177]
	v_mul_f64 v[202:203], v[104:105], s[50:51]
	v_add_f64 v[0:1], v[4:5], v[0:1]
	v_fma_f64 v[4:5], v[150:151], s[6:7], -v[202:203]
	v_mul_f64 v[180:181], v[110:111], s[34:35]
	v_add_f64 v[2:3], v[4:5], v[2:3]
	v_fma_f64 v[4:5], s[14:15], v[154:155], v[180:181]
	v_mul_f64 v[206:207], v[108:109], s[34:35]
	;; [unrolled: 6-line block ×3, first 2 shown]
	s_mov_b32 s59, 0x3fefdd0d
	s_mov_b32 s58, s36
	v_add_f64 v[0:1], v[4:5], v[0:1]
	v_fma_f64 v[4:5], v[164:165], s[24:25], -v[210:211]
	v_mul_f64 v[198:199], v[124:125], s[58:59]
	v_add_f64 v[2:3], v[4:5], v[2:3]
	v_fma_f64 v[4:5], s[16:17], v[168:169], v[198:199]
	v_mul_f64 v[212:213], v[250:251], s[58:59]
	v_add_f64 v[0:1], v[4:5], v[0:1]
	v_fma_f64 v[4:5], v[170:171], s[16:17], -v[212:213]
	v_mul_f64 v[204:205], v[162:163], s[26:27]
	v_add_f64 v[2:3], v[4:5], v[2:3]
	v_fma_f64 v[4:5], s[0:1], v[174:175], v[204:205]
	v_mul_f64 v[214:215], v[152:153], s[26:27]
	;; [unrolled: 6-line block ×4, first 2 shown]
	v_add_f64 v[0:1], v[28:29], v[0:1]
	v_fma_f64 v[2:3], s[18:19], v[140:141], v[220:221]
	v_mul_f64 v[226:227], v[100:101], s[40:41]
	v_accvgpr_write_b32 a21, v7
	v_add_f64 v[0:1], v[2:3], v[0:1]
	v_fma_f64 v[2:3], v[130:131], s[20:21], -v[226:227]
	v_mul_f64 v[230:231], v[102:103], s[52:53]
	v_accvgpr_write_b32 a20, v6
	v_accvgpr_write_b32 a19, v5
	;; [unrolled: 1-line block ×3, first 2 shown]
	v_add_f64 v[2:3], v[30:31], v[2:3]
	v_fma_f64 v[4:5], v[142:143], s[18:19], -v[230:231]
	v_mul_f64 v[222:223], v[106:107], s[26:27]
	v_add_f64 v[2:3], v[4:5], v[2:3]
	v_fma_f64 v[4:5], s[0:1], v[146:147], v[222:223]
	v_mul_f64 v[234:235], v[104:105], s[26:27]
	v_add_f64 v[0:1], v[4:5], v[0:1]
	v_fma_f64 v[4:5], v[150:151], s[0:1], -v[234:235]
	v_mul_f64 v[224:225], v[110:111], s[42:43]
	v_add_f64 v[2:3], v[4:5], v[2:3]
	v_fma_f64 v[4:5], s[22:23], v[154:155], v[224:225]
	v_mul_f64 v[238:239], v[108:109], s[42:43]
	;; [unrolled: 6-line block ×3, first 2 shown]
	v_add_f64 v[0:1], v[4:5], v[0:1]
	v_fma_f64 v[4:5], v[164:165], s[16:17], -v[242:243]
	v_mul_f64 v[232:233], v[124:125], s[28:29]
	v_add_f64 v[2:3], v[4:5], v[2:3]
	v_fma_f64 v[4:5], s[6:7], v[168:169], v[232:233]
	v_add_f64 v[0:1], v[4:5], v[0:1]
	v_mul_f64 v[4:5], v[250:251], s[28:29]
	v_fma_f64 v[6:7], v[170:171], s[6:7], -v[4:5]
	v_mul_f64 v[236:237], v[162:163], s[44:45]
	v_add_f64 v[2:3], v[6:7], v[2:3]
	v_fma_f64 v[6:7], s[24:25], v[174:175], v[236:237]
	v_add_f64 v[0:1], v[6:7], v[0:1]
	v_mul_f64 v[6:7], v[152:153], s[44:45]
	;; [unrolled: 6-line block ×3, first 2 shown]
	v_fma_f64 v[0:1], v[200:201], s[14:15], -v[8:9]
	v_add_f64 v[12:13], v[0:1], v[2:3]
	v_accvgpr_write_b32 a25, v13
	v_accvgpr_write_b32 a24, v12
	;; [unrolled: 1-line block ×4, first 2 shown]
	v_mul_f64 v[10:11], v[96:97], s[42:43]
	v_fma_f64 v[0:1], s[22:23], v[128:129], v[10:11]
	v_add_f64 v[2:3], v[28:29], v[0:1]
	v_mul_f64 v[0:1], v[98:99], s[46:47]
	v_fma_f64 v[12:13], s[14:15], v[140:141], v[0:1]
	v_add_f64 v[14:15], v[12:13], v[2:3]
	v_mul_f64 v[2:3], v[100:101], s[42:43]
	v_fma_f64 v[12:13], v[130:131], s[22:23], -v[2:3]
	v_mul_f64 v[18:19], v[102:103], s[46:47]
	v_add_f64 v[12:13], v[30:31], v[12:13]
	v_fma_f64 v[16:17], v[142:143], s[14:15], -v[18:19]
	v_add_f64 v[16:17], v[16:17], v[12:13]
	v_mul_f64 v[12:13], v[106:107], s[36:37]
	v_fma_f64 v[20:21], s[16:17], v[146:147], v[12:13]
	v_add_f64 v[22:23], v[20:21], v[14:15]
	v_mul_f64 v[20:21], v[104:105], s[36:37]
	v_fma_f64 v[14:15], v[150:151], s[16:17], -v[20:21]
	v_add_f64 v[16:17], v[14:15], v[16:17]
	v_mul_f64 v[14:15], v[110:111], s[60:61]
	v_fma_f64 v[24:25], s[20:21], v[154:155], v[14:15]
	v_mul_f64 v[244:245], v[108:109], s[60:61]
	v_add_f64 v[22:23], v[24:25], v[22:23]
	v_fma_f64 v[24:25], v[156:157], s[20:21], -v[244:245]
	v_add_f64 v[24:25], v[24:25], v[16:17]
	v_mul_f64 v[16:17], v[114:115], s[26:27]
	v_fma_f64 v[26:27], s[0:1], v[160:161], v[16:17]
	v_add_f64 v[22:23], v[26:27], v[22:23]
	v_mul_f64 v[26:27], v[112:113], s[26:27]
	v_fma_f64 v[116:117], v[164:165], s[0:1], -v[26:27]
	v_mul_f64 v[194:195], v[124:125], s[44:45]
	v_add_f64 v[24:25], v[116:117], v[24:25]
	v_fma_f64 v[116:117], s[24:25], v[168:169], v[194:195]
	v_add_f64 v[118:119], v[116:117], v[22:23]
	v_mul_f64 v[116:117], v[250:251], s[44:45]
	v_fma_f64 v[22:23], v[170:171], s[24:25], -v[116:117]
	v_add_f64 v[24:25], v[22:23], v[24:25]
	v_mul_f64 v[22:23], v[162:163], s[50:51]
	v_fma_f64 v[246:247], s[6:7], v[174:175], v[22:23]
	v_add_f64 v[246:247], v[246:247], v[118:119]
	v_mul_f64 v[118:119], v[152:153], s[50:51]
	v_fma_f64 v[248:249], v[178:179], s[6:7], -v[118:119]
	v_add_f64 v[248:249], v[248:249], v[24:25]
	v_mul_f64 v[24:25], v[188:189], s[38:39]
	v_fma_f64 v[252:253], s[18:19], v[190:191], v[24:25]
	v_add_f64 v[120:121], v[252:253], v[246:247]
	v_mul_f64 v[246:247], v[186:187], s[38:39]
	v_fma_f64 v[252:253], v[200:201], s[18:19], -v[246:247]
	v_add_f64 v[122:123], v[252:253], v[248:249]
	v_accvgpr_write_b32 a26, v120
	v_accvgpr_write_b32 a27, v121
	;; [unrolled: 1-line block ×4, first 2 shown]
	v_mul_lo_u16_e32 v120, 17, v193
	v_accvgpr_write_b32 a1, v120
	s_barrier
	s_and_saveexec_b64 s[30:31], s[2:3]
	s_cbranch_execz .LBB0_7
; %bb.6:
	v_mul_f64 v[248:249], v[130:131], s[24:25]
	v_fma_f64 v[252:253], s[56:57], v[100:101], v[248:249]
	v_accvgpr_write_b32 a0, v254
	v_mul_f64 v[254:255], v[142:143], s[0:1]
	v_add_f64 v[252:253], v[30:31], v[252:253]
	v_fma_f64 v[120:121], s[26:27], v[102:103], v[254:255]
	v_add_f64 v[120:121], v[120:121], v[252:253]
	v_mul_f64 v[252:253], v[150:151], s[22:23]
	v_fma_f64 v[122:123], s[54:55], v[104:105], v[252:253]
	v_add_f64 v[120:121], v[122:123], v[120:121]
	v_mul_f64 v[122:123], v[156:157], s[6:7]
	v_accvgpr_write_b32 a143, v127
	v_accvgpr_write_b32 a142, v126
	v_fma_f64 v[126:127], s[28:29], v[108:109], v[122:123]
	v_add_f64 v[120:121], v[126:127], v[120:121]
	v_mul_f64 v[126:127], v[164:165], s[20:21]
	v_accvgpr_write_b32 a147, v133
	v_accvgpr_write_b32 a146, v132
	v_fma_f64 v[132:133], s[60:61], v[112:113], v[126:127]
	v_fmac_f64_e32 v[126:127], s[40:41], v[112:113]
	v_mul_f64 v[112:113], v[150:151], s[16:17]
	v_add_f64 v[20:21], v[20:21], v[112:113]
	v_mul_f64 v[112:113], v[142:143], s[14:15]
	v_add_f64 v[18:19], v[18:19], v[112:113]
	;; [unrolled: 2-line block ×3, first 2 shown]
	v_mul_f64 v[132:133], v[170:171], s[14:15]
	v_accvgpr_write_b32 a145, v135
	v_add_f64 v[2:3], v[2:3], v[112:113]
	v_accvgpr_write_b32 a144, v134
	v_fma_f64 v[134:135], s[34:35], v[250:251], v[132:133]
	v_add_f64 v[2:3], v[30:31], v[2:3]
	v_add_f64 v[120:121], v[134:135], v[120:121]
	v_mul_f64 v[134:135], v[178:179], s[18:19]
	v_accvgpr_write_b32 a149, v137
	v_accvgpr_write_b32 a151, v139
	v_add_f64 v[2:3], v[18:19], v[2:3]
	v_mul_f64 v[18:19], v[190:191], s[18:19]
	v_accvgpr_write_b32 a148, v136
	v_fma_f64 v[136:137], s[52:53], v[152:153], v[134:135]
	v_accvgpr_write_b32 a150, v138
	v_mul_f64 v[138:139], v[96:97], s[44:45]
	v_add_f64 v[18:19], v[18:19], -v[24:25]
	v_mul_f64 v[24:25], v[160:161], s[0:1]
	v_add_f64 v[120:121], v[136:137], v[120:121]
	v_mul_f64 v[136:137], v[98:99], s[48:49]
	v_fma_f64 v[96:97], s[24:25], v[128:129], v[138:139]
	v_add_f64 v[16:17], v[24:25], -v[16:17]
	v_mul_f64 v[24:25], v[154:155], s[20:21]
	v_add_f64 v[96:97], v[28:29], v[96:97]
	v_fma_f64 v[98:99], s[0:1], v[140:141], v[136:137]
	v_mul_f64 v[106:107], v[106:107], s[42:43]
	v_fmac_f64_e32 v[248:249], s[44:45], v[100:101]
	v_add_f64 v[14:15], v[24:25], -v[14:15]
	v_mul_f64 v[24:25], v[146:147], s[16:17]
	v_add_f64 v[96:97], v[98:99], v[96:97]
	v_fma_f64 v[98:99], s[22:23], v[146:147], v[106:107]
	v_mul_f64 v[110:111], v[110:111], s[50:51]
	v_fmac_f64_e32 v[252:253], s[42:43], v[104:105]
	v_fmac_f64_e32 v[254:255], s[48:49], v[102:103]
	v_add_f64 v[100:101], v[30:31], v[248:249]
	v_fma_f64 v[104:105], v[128:129], s[24:25], -v[138:139]
	v_add_f64 v[12:13], v[24:25], -v[12:13]
	v_mul_f64 v[24:25], v[140:141], s[14:15]
	v_add_f64 v[96:97], v[98:99], v[96:97]
	v_fma_f64 v[98:99], s[6:7], v[154:155], v[110:111]
	v_mul_f64 v[114:115], v[114:115], s[40:41]
	v_add_f64 v[100:101], v[254:255], v[100:101]
	v_fma_f64 v[102:103], v[140:141], s[0:1], -v[136:137]
	v_add_f64 v[104:105], v[28:29], v[104:105]
	v_add_f64 v[0:1], v[24:25], -v[0:1]
	v_mul_f64 v[24:25], v[128:129], s[22:23]
	v_add_f64 v[96:97], v[98:99], v[96:97]
	v_fma_f64 v[98:99], s[20:21], v[160:161], v[114:115]
	v_mul_f64 v[124:125], v[124:125], s[46:47]
	v_fmac_f64_e32 v[122:123], s[50:51], v[108:109]
	v_add_f64 v[100:101], v[252:253], v[100:101]
	v_add_f64 v[102:103], v[102:103], v[104:105]
	v_fma_f64 v[104:105], v[146:147], s[22:23], -v[106:107]
	v_add_f64 v[10:11], v[24:25], -v[10:11]
	v_add_f64 v[96:97], v[98:99], v[96:97]
	v_fma_f64 v[98:99], s[14:15], v[168:169], v[124:125]
	v_mul_f64 v[162:163], v[162:163], s[38:39]
	v_accvgpr_write_b32 a153, v145
	v_add_f64 v[100:101], v[122:123], v[100:101]
	v_add_f64 v[102:103], v[104:105], v[102:103]
	v_fma_f64 v[104:105], v[154:155], s[6:7], -v[110:111]
	v_mul_f64 v[110:111], v[164:165], s[0:1]
	v_add_f64 v[10:11], v[28:29], v[10:11]
	v_add_f64 v[96:97], v[98:99], v[96:97]
	v_fma_f64 v[98:99], s[18:19], v[174:175], v[162:163]
	v_accvgpr_write_b32 a152, v144
	v_mul_f64 v[144:145], v[200:201], s[16:17]
	v_fmac_f64_e32 v[132:133], s[46:47], v[250:251]
	v_add_f64 v[100:101], v[126:127], v[100:101]
	v_add_f64 v[102:103], v[104:105], v[102:103]
	v_fma_f64 v[104:105], v[160:161], s[20:21], -v[114:115]
	v_add_f64 v[26:27], v[26:27], v[110:111]
	v_mul_f64 v[110:111], v[156:157], s[20:21]
	v_add_f64 v[0:1], v[0:1], v[10:11]
	v_add_f64 v[96:97], v[98:99], v[96:97]
	v_fma_f64 v[98:99], s[36:37], v[186:187], v[144:145]
	v_fmac_f64_e32 v[134:135], s[38:39], v[152:153]
	v_add_f64 v[100:101], v[132:133], v[100:101]
	v_add_f64 v[102:103], v[104:105], v[102:103]
	v_fma_f64 v[104:105], v[168:169], s[14:15], -v[124:125]
	v_add_f64 v[110:111], v[244:245], v[110:111]
	v_add_f64 v[2:3], v[20:21], v[2:3]
	v_mul_f64 v[20:21], v[174:175], s[6:7]
	v_add_f64 v[0:1], v[12:13], v[0:1]
	v_add_f64 v[98:99], v[98:99], v[120:121]
	v_mul_f64 v[120:121], v[188:189], s[58:59]
	v_fmac_f64_e32 v[144:145], s[58:59], v[186:187]
	v_add_f64 v[100:101], v[134:135], v[100:101]
	v_add_f64 v[102:103], v[104:105], v[102:103]
	v_fma_f64 v[104:105], v[174:175], s[18:19], -v[162:163]
	v_mul_f64 v[108:109], v[170:171], s[24:25]
	v_add_f64 v[2:3], v[110:111], v[2:3]
	v_add_f64 v[20:21], v[20:21], -v[22:23]
	v_mul_f64 v[22:23], v[168:169], s[24:25]
	v_add_f64 v[0:1], v[14:15], v[0:1]
	v_add_f64 v[104:105], v[104:105], v[102:103]
	;; [unrolled: 1-line block ×3, first 2 shown]
	v_fma_f64 v[100:101], v[190:191], s[16:17], -v[120:121]
	v_mul_f64 v[106:107], v[178:179], s[6:7]
	v_add_f64 v[108:109], v[116:117], v[108:109]
	v_add_f64 v[2:3], v[26:27], v[2:3]
	v_add_f64 v[22:23], v[22:23], -v[194:195]
	v_add_f64 v[0:1], v[16:17], v[0:1]
	v_add_f64 v[100:101], v[100:101], v[104:105]
	v_mul_f64 v[104:105], v[200:201], s[18:19]
	v_add_f64 v[106:107], v[118:119], v[106:107]
	v_add_f64 v[2:3], v[108:109], v[2:3]
	;; [unrolled: 1-line block ×6, first 2 shown]
	v_mul_f64 v[14:15], v[130:131], s[20:21]
	v_add_f64 v[106:107], v[104:105], v[2:3]
	v_add_f64 v[104:105], v[18:19], v[0:1]
	v_mul_f64 v[12:13], v[142:143], s[18:19]
	v_add_f64 v[14:15], v[226:227], v[14:15]
	v_mul_f64 v[18:19], v[128:129], s[20:21]
	v_mul_f64 v[0:1], v[200:201], s[14:15]
	;; [unrolled: 1-line block ×4, first 2 shown]
	v_add_f64 v[12:13], v[230:231], v[12:13]
	v_add_f64 v[14:15], v[30:31], v[14:15]
	v_mul_f64 v[16:17], v[140:141], s[18:19]
	v_add_f64 v[18:19], v[18:19], -v[218:219]
	v_add_f64 v[0:1], v[8:9], v[0:1]
	v_add_f64 v[2:3], v[6:7], v[2:3]
	v_mul_f64 v[6:7], v[170:171], s[6:7]
	v_mul_f64 v[8:9], v[156:157], s[22:23]
	v_add_f64 v[10:11], v[234:235], v[10:11]
	v_add_f64 v[12:13], v[12:13], v[14:15]
	v_mul_f64 v[14:15], v[146:147], s[0:1]
	v_add_f64 v[16:17], v[16:17], -v[220:221]
	v_add_f64 v[18:19], v[28:29], v[18:19]
	v_add_f64 v[4:5], v[4:5], v[6:7]
	v_mul_f64 v[6:7], v[164:165], s[16:17]
	v_add_f64 v[8:9], v[238:239], v[8:9]
	v_add_f64 v[10:11], v[10:11], v[12:13]
	v_mul_f64 v[12:13], v[154:155], s[22:23]
	v_add_f64 v[14:15], v[14:15], -v[222:223]
	v_add_f64 v[16:17], v[16:17], v[18:19]
	v_add_f64 v[6:7], v[242:243], v[6:7]
	;; [unrolled: 1-line block ×3, first 2 shown]
	v_mul_f64 v[10:11], v[160:161], s[16:17]
	v_add_f64 v[12:13], v[12:13], -v[224:225]
	v_add_f64 v[14:15], v[14:15], v[16:17]
	v_add_f64 v[6:7], v[6:7], v[8:9]
	v_mul_f64 v[8:9], v[168:169], s[6:7]
	v_add_f64 v[10:11], v[10:11], -v[228:229]
	v_add_f64 v[12:13], v[12:13], v[14:15]
	v_mul_f64 v[14:15], v[130:131], s[18:19]
	v_add_f64 v[4:5], v[4:5], v[6:7]
	v_mul_f64 v[6:7], v[174:175], s[24:25]
	v_add_f64 v[8:9], v[8:9], -v[232:233]
	v_add_f64 v[10:11], v[10:11], v[12:13]
	v_mul_f64 v[12:13], v[142:143], s[22:23]
	v_add_f64 v[14:15], v[182:183], v[14:15]
	v_mul_f64 v[18:19], v[128:129], s[18:19]
	;; [unrolled: 2-line block ×3, first 2 shown]
	v_add_f64 v[6:7], v[6:7], -v[236:237]
	v_add_f64 v[8:9], v[8:9], v[10:11]
	v_mul_f64 v[10:11], v[150:151], s[6:7]
	v_add_f64 v[12:13], v[196:197], v[12:13]
	v_add_f64 v[14:15], v[30:31], v[14:15]
	v_mul_f64 v[16:17], v[140:141], s[22:23]
	v_add_f64 v[18:19], v[18:19], -v[166:167]
	v_add_f64 v[4:5], v[4:5], -v[240:241]
	v_add_f64 v[6:7], v[6:7], v[8:9]
	v_mul_f64 v[8:9], v[156:157], s[14:15]
	v_add_f64 v[10:11], v[202:203], v[10:11]
	v_add_f64 v[12:13], v[12:13], v[14:15]
	v_mul_f64 v[14:15], v[146:147], s[6:7]
	v_add_f64 v[16:17], v[16:17], -v[172:173]
	v_add_f64 v[18:19], v[28:29], v[18:19]
	v_add_f64 v[108:109], v[4:5], v[6:7]
	v_mul_f64 v[6:7], v[164:165], s[24:25]
	v_add_f64 v[8:9], v[206:207], v[8:9]
	v_add_f64 v[10:11], v[10:11], v[12:13]
	v_mul_f64 v[12:13], v[154:155], s[14:15]
	v_add_f64 v[14:15], v[14:15], -v[176:177]
	v_add_f64 v[16:17], v[16:17], v[18:19]
	v_mul_f64 v[4:5], v[170:171], s[16:17]
	v_add_f64 v[6:7], v[210:211], v[6:7]
	v_add_f64 v[8:9], v[8:9], v[10:11]
	v_mul_f64 v[10:11], v[160:161], s[24:25]
	v_add_f64 v[12:13], v[12:13], -v[180:181]
	v_add_f64 v[14:15], v[14:15], v[16:17]
	v_add_f64 v[110:111], v[0:1], v[2:3]
	v_mul_f64 v[2:3], v[178:179], s[0:1]
	v_add_f64 v[4:5], v[212:213], v[4:5]
	v_add_f64 v[6:7], v[6:7], v[8:9]
	v_mul_f64 v[8:9], v[168:169], s[16:17]
	v_add_f64 v[10:11], v[10:11], -v[184:185]
	v_add_f64 v[12:13], v[12:13], v[14:15]
	v_add_f64 v[2:3], v[214:215], v[2:3]
	;; [unrolled: 1-line block ×3, first 2 shown]
	v_mul_f64 v[6:7], v[174:175], s[0:1]
	v_add_f64 v[8:9], v[8:9], -v[198:199]
	v_add_f64 v[10:11], v[10:11], v[12:13]
	v_add_f64 v[2:3], v[2:3], v[4:5]
	v_mul_f64 v[4:5], v[190:191], s[20:21]
	v_add_f64 v[6:7], v[6:7], -v[204:205]
	v_add_f64 v[8:9], v[8:9], v[10:11]
	v_add_f64 v[4:5], v[4:5], -v[208:209]
	v_add_f64 v[6:7], v[6:7], v[8:9]
	v_add_f64 v[112:113], v[4:5], v[6:7]
	v_accvgpr_read_b32 v6, a140
	v_mul_f64 v[4:5], v[170:171], s[22:23]
	v_accvgpr_read_b32 v7, a141
	v_accvgpr_read_b32 v8, a138
	v_add_f64 v[4:5], v[6:7], v[4:5]
	v_mul_f64 v[6:7], v[164:165], s[14:15]
	v_accvgpr_read_b32 v9, a139
	v_accvgpr_read_b32 v10, a134
	v_add_f64 v[6:7], v[8:9], v[6:7]
	;; [unrolled: 4-line block ×5, first 2 shown]
	v_mul_f64 v[14:15], v[130:131], s[16:17]
	v_accvgpr_read_b32 v17, a123
	v_add_f64 v[14:15], v[16:17], v[14:15]
	v_add_f64 v[14:15], v[30:31], v[14:15]
	;; [unrolled: 1-line block ×3, first 2 shown]
	v_mul_f64 v[0:1], v[200:201], s[20:21]
	v_add_f64 v[10:11], v[10:11], v[12:13]
	v_add_f64 v[0:1], v[216:217], v[0:1]
	;; [unrolled: 1-line block ×4, first 2 shown]
	v_mul_f64 v[2:3], v[178:179], s[20:21]
	v_add_f64 v[6:7], v[6:7], v[8:9]
	v_add_f64 v[2:3], v[148:149], v[2:3]
	;; [unrolled: 1-line block ×3, first 2 shown]
	v_accvgpr_read_b32 v6, a136
	v_add_f64 v[2:3], v[2:3], v[4:5]
	v_mul_f64 v[4:5], v[190:191], s[6:7]
	v_accvgpr_read_b32 v7, a137
	v_accvgpr_read_b32 v8, a132
	v_add_f64 v[4:5], v[4:5], -v[6:7]
	v_mul_f64 v[6:7], v[174:175], s[20:21]
	v_accvgpr_read_b32 v9, a133
	v_accvgpr_read_b32 v10, a128
	v_add_f64 v[6:7], v[6:7], -v[8:9]
	v_mul_f64 v[8:9], v[168:169], s[22:23]
	v_accvgpr_read_b32 v11, a129
	v_accvgpr_read_b32 v12, a124
	v_add_f64 v[8:9], v[8:9], -v[10:11]
	v_mul_f64 v[10:11], v[160:161], s[14:15]
	v_accvgpr_read_b32 v13, a125
	v_accvgpr_read_b32 v14, a120
	v_add_f64 v[10:11], v[10:11], -v[12:13]
	v_mul_f64 v[12:13], v[154:155], s[0:1]
	v_accvgpr_read_b32 v15, a121
	v_accvgpr_read_b32 v16, a118
	v_add_f64 v[12:13], v[12:13], -v[14:15]
	v_mul_f64 v[14:15], v[146:147], s[18:19]
	v_accvgpr_read_b32 v17, a119
	v_accvgpr_read_b32 v18, a116
	v_add_f64 v[14:15], v[14:15], -v[16:17]
	v_mul_f64 v[16:17], v[140:141], s[24:25]
	v_accvgpr_read_b32 v19, a117
	v_accvgpr_read_b32 v20, a114
	v_add_f64 v[16:17], v[16:17], -v[18:19]
	v_mul_f64 v[18:19], v[128:129], s[16:17]
	v_accvgpr_read_b32 v21, a115
	v_add_f64 v[18:19], v[18:19], -v[20:21]
	v_add_f64 v[18:19], v[28:29], v[18:19]
	v_add_f64 v[16:17], v[16:17], v[18:19]
	;; [unrolled: 1-line block ×4, first 2 shown]
	v_mul_f64 v[0:1], v[200:201], s[6:7]
	v_add_f64 v[10:11], v[10:11], v[12:13]
	v_add_f64 v[0:1], v[158:159], v[0:1]
	;; [unrolled: 1-line block ×5, first 2 shown]
	v_accvgpr_read_b32 v2, a112
	v_add_f64 v[116:117], v[4:5], v[6:7]
	v_mul_f64 v[0:1], v[200:201], s[22:23]
	v_accvgpr_read_b32 v3, a113
	v_accvgpr_read_b32 v4, a110
	v_add_f64 v[0:1], v[2:3], v[0:1]
	v_mul_f64 v[2:3], v[178:179], s[16:17]
	v_accvgpr_read_b32 v5, a111
	v_accvgpr_read_b32 v6, a108
	v_add_f64 v[2:3], v[4:5], v[2:3]
	v_mul_f64 v[4:5], v[170:171], s[0:1]
	v_accvgpr_read_b32 v7, a109
	v_accvgpr_read_b32 v8, a106
	v_add_f64 v[4:5], v[6:7], v[4:5]
	v_mul_f64 v[6:7], v[164:165], s[6:7]
	v_accvgpr_read_b32 v9, a107
	v_accvgpr_read_b32 v10, a104
	v_add_f64 v[6:7], v[8:9], v[6:7]
	v_mul_f64 v[8:9], v[156:157], s[18:19]
	v_accvgpr_read_b32 v11, a105
	v_accvgpr_read_b32 v12, a102
	v_add_f64 v[8:9], v[10:11], v[8:9]
	v_mul_f64 v[10:11], v[150:151], s[24:25]
	v_accvgpr_read_b32 v13, a103
	v_accvgpr_read_b32 v14, a100
	v_add_f64 v[10:11], v[12:13], v[10:11]
	v_mul_f64 v[12:13], v[142:143], s[20:21]
	v_accvgpr_read_b32 v15, a101
	v_accvgpr_read_b32 v16, a96
	v_add_f64 v[12:13], v[14:15], v[12:13]
	v_mul_f64 v[14:15], v[130:131], s[14:15]
	v_accvgpr_read_b32 v17, a97
	v_add_f64 v[14:15], v[16:17], v[14:15]
	v_add_f64 v[14:15], v[30:31], v[14:15]
	;; [unrolled: 1-line block ×7, first 2 shown]
	v_accvgpr_read_b32 v26, a98
	v_fma_f64 v[188:189], s[16:17], v[190:191], v[120:121]
	v_add_f64 v[2:3], v[2:3], v[4:5]
	v_mul_f64 v[4:5], v[190:191], s[22:23]
	v_accvgpr_read_b32 v27, a99
	v_accvgpr_read_b32 v121, a95
	v_add_f64 v[4:5], v[4:5], -v[26:27]
	v_mul_f64 v[26:27], v[174:175], s[16:17]
	v_accvgpr_read_b32 v120, a94
	v_accvgpr_read_b32 v123, a93
	v_add_f64 v[26:27], v[26:27], -v[120:121]
	v_mul_f64 v[120:121], v[168:169], s[0:1]
	v_accvgpr_read_b32 v122, a92
	v_accvgpr_read_b32 v125, a91
	;; [unrolled: 1-line block ×3, first 2 shown]
	v_mul_f64 v[14:15], v[130:131], s[0:1]
	v_mul_f64 v[18:19], v[130:131], s[6:7]
	v_mul_f64 v[20:21], v[128:129], s[14:15]
	v_add_f64 v[120:121], v[120:121], -v[122:123]
	v_mul_f64 v[122:123], v[160:161], s[6:7]
	v_accvgpr_read_b32 v124, a90
	v_accvgpr_read_b32 v127, a89
	;; [unrolled: 1-line block ×4, first 2 shown]
	v_mul_f64 v[16:17], v[128:129], s[0:1]
	v_mul_f64 v[12:13], v[128:129], s[6:7]
	;; [unrolled: 1-line block ×3, first 2 shown]
	v_add_f64 v[122:123], v[122:123], -v[124:125]
	v_mul_f64 v[124:125], v[154:155], s[18:19]
	v_accvgpr_read_b32 v126, a88
	v_accvgpr_read_b32 v129, a87
	;; [unrolled: 1-line block ×3, first 2 shown]
	v_add_f64 v[20:21], v[20:21], -v[136:137]
	v_add_f64 v[124:125], v[124:125], -v[126:127]
	v_mul_f64 v[126:127], v[146:147], s[24:25]
	v_accvgpr_read_b32 v128, a86
	v_add_f64 v[24:25], v[24:25], -v[130:131]
	v_add_f64 v[20:21], v[28:29], v[20:21]
	v_add_f64 v[126:127], v[126:127], -v[128:129]
	v_add_f64 v[20:21], v[24:25], v[20:21]
	v_mul_f64 v[8:9], v[142:143], s[6:7]
	v_mul_f64 v[6:7], v[142:143], s[16:17]
	v_add_f64 v[20:21], v[126:127], v[20:21]
	v_mul_f64 v[126:127], v[160:161], s[18:19]
	v_mul_f64 v[142:143], v[160:161], s[22:23]
	v_accvgpr_read_b32 v161, a79
	v_mul_f64 v[130:131], v[150:151], s[14:15]
	v_mul_f64 v[134:135], v[150:151], s[20:21]
	;; [unrolled: 1-line block ×3, first 2 shown]
	v_accvgpr_read_b32 v160, a78
	v_add_f64 v[150:151], v[160:161], v[150:151]
	v_accvgpr_read_b32 v161, a77
	v_mul_f64 v[148:149], v[170:171], s[18:19]
	v_accvgpr_read_b32 v160, a76
	v_add_f64 v[148:149], v[160:161], v[148:149]
	v_accvgpr_read_b32 v161, a73
	v_mul_f64 v[144:145], v[164:165], s[22:23]
	;; [unrolled: 4-line block ×3, first 2 shown]
	v_mul_f64 v[10:11], v[140:141], s[16:17]
	v_mul_f64 v[140:141], v[156:157], s[24:25]
	v_accvgpr_read_b32 v160, a68
	v_add_f64 v[140:141], v[160:161], v[140:141]
	v_accvgpr_read_b32 v161, a65
	v_accvgpr_read_b32 v160, a64
	v_add_f64 v[134:135], v[160:161], v[134:135]
	v_accvgpr_read_b32 v161, a61
	;; [unrolled: 3-line block ×3, first 2 shown]
	v_accvgpr_read_b32 v160, a58
	v_add_f64 v[18:19], v[160:161], v[18:19]
	v_add_f64 v[18:19], v[30:31], v[18:19]
	;; [unrolled: 1-line block ×5, first 2 shown]
	v_accvgpr_read_b32 v141, a63
	v_accvgpr_read_b32 v140, a62
	v_add_f64 v[140:141], v[142:143], -v[140:141]
	v_accvgpr_read_b32 v143, a57
	v_mul_f64 v[138:139], v[154:155], s[24:25]
	v_accvgpr_read_b32 v142, a56
	v_add_f64 v[138:139], v[138:139], -v[142:143]
	v_accvgpr_read_b32 v143, a55
	v_mul_f64 v[132:133], v[146:147], s[20:21]
	v_accvgpr_read_b32 v142, a54
	v_add_f64 v[132:133], v[132:133], -v[142:143]
	v_accvgpr_read_b32 v143, a53
	v_accvgpr_read_b32 v142, a52
	v_add_f64 v[20:21], v[124:125], v[20:21]
	v_add_f64 v[10:11], v[10:11], -v[142:143]
	v_accvgpr_read_b32 v143, a51
	v_add_f64 v[20:21], v[122:123], v[20:21]
	v_accvgpr_read_b32 v142, a50
	v_add_f64 v[20:21], v[120:121], v[20:21]
	v_add_f64 v[12:13], v[12:13], -v[142:143]
	v_add_f64 v[20:21], v[26:27], v[20:21]
	v_accvgpr_read_b32 v135, a71
	v_add_f64 v[12:13], v[28:29], v[12:13]
	v_add_f64 v[2:3], v[0:1], v[2:3]
	;; [unrolled: 1-line block ×3, first 2 shown]
	v_mul_f64 v[4:5], v[174:175], s[14:15]
	v_accvgpr_read_b32 v134, a70
	v_add_f64 v[10:11], v[10:11], v[12:13]
	v_add_f64 v[4:5], v[4:5], -v[134:135]
	v_accvgpr_read_b32 v135, a67
	v_add_f64 v[10:11], v[132:133], v[10:11]
	v_mul_f64 v[128:129], v[146:147], s[14:15]
	v_mul_f64 v[146:147], v[168:169], s[18:19]
	v_accvgpr_read_b32 v134, a66
	v_add_f64 v[10:11], v[138:139], v[10:11]
	v_accvgpr_read_b32 v12, a44
	v_mul_f64 v[20:21], v[178:179], s[22:23]
	v_accvgpr_read_b32 v18, a74
	v_add_f64 v[134:135], v[146:147], -v[134:135]
	v_add_f64 v[10:11], v[140:141], v[10:11]
	v_accvgpr_read_b32 v13, a45
	v_mul_f64 v[158:159], v[190:191], s[0:1]
	v_accvgpr_read_b32 v19, a75
	v_add_f64 v[10:11], v[134:135], v[10:11]
	v_add_f64 v[12:13], v[12:13], v[20:21]
	v_accvgpr_read_b32 v20, a36
	v_mul_f64 v[124:125], v[164:165], s[18:19]
	v_add_f64 v[18:19], v[158:159], -v[18:19]
	v_add_f64 v[4:5], v[4:5], v[10:11]
	v_accvgpr_read_b32 v21, a37
	v_add_f64 v[4:5], v[18:19], v[4:5]
	v_accvgpr_read_b32 v18, a40
	;; [unrolled: 2-line block ×3, first 2 shown]
	v_mul_f64 v[120:121], v[170:171], s[20:21]
	v_accvgpr_read_b32 v19, a41
	v_accvgpr_read_b32 v125, a149
	v_add_f64 v[18:19], v[18:19], v[120:121]
	v_accvgpr_read_b32 v121, a33
	v_add_f64 v[8:9], v[124:125], v[8:9]
	v_accvgpr_read_b32 v124, a146
	v_mul_f64 v[24:25], v[156:157], s[16:17]
	v_accvgpr_read_b32 v120, a32
	v_accvgpr_read_b32 v125, a147
	v_add_f64 v[24:25], v[120:121], v[24:25]
	v_accvgpr_read_b32 v120, a152
	v_add_f64 v[14:15], v[124:125], v[14:15]
	;; [unrolled: 2-line block ×3, first 2 shown]
	v_add_f64 v[120:121], v[120:121], v[130:131]
	v_add_f64 v[8:9], v[8:9], v[14:15]
	;; [unrolled: 1-line block ×7, first 2 shown]
	v_accvgpr_read_b32 v12, a42
	v_mul_f64 v[26:27], v[174:175], s[22:23]
	v_accvgpr_read_b32 v13, a43
	v_add_f64 v[12:13], v[26:27], -v[12:13]
	v_accvgpr_read_b32 v26, a144
	v_accvgpr_read_b32 v27, a145
	v_add_f64 v[22:23], v[22:23], -v[26:27]
	v_accvgpr_read_b32 v26, a142
	v_accvgpr_read_b32 v27, a143
	v_accvgpr_read_b32 v24, a150
	v_add_f64 v[16:17], v[16:17], -v[26:27]
	v_accvgpr_read_b32 v20, a30
	v_accvgpr_read_b32 v25, a151
	v_add_f64 v[16:17], v[28:29], v[16:17]
	v_mul_f64 v[136:137], v[154:155], s[16:17]
	v_accvgpr_read_b32 v10, a48
	v_accvgpr_read_b32 v18, a34
	;; [unrolled: 1-line block ×3, first 2 shown]
	v_add_f64 v[24:25], v[128:129], -v[24:25]
	v_add_f64 v[16:17], v[22:23], v[16:17]
	v_mul_f64 v[156:157], v[200:201], s[24:25]
	v_accvgpr_read_b32 v11, a49
	v_accvgpr_read_b32 v14, a38
	v_accvgpr_read_b32 v19, a35
	v_add_f64 v[20:21], v[136:137], -v[20:21]
	v_add_f64 v[16:17], v[24:25], v[16:17]
	v_mul_f64 v[122:123], v[168:169], s[20:21]
	v_accvgpr_read_b32 v155, a81
	v_add_f64 v[10:11], v[10:11], v[156:157]
	v_accvgpr_read_b32 v15, a39
	v_add_f64 v[18:19], v[126:127], -v[18:19]
	v_add_f64 v[16:17], v[20:21], v[16:17]
	v_mul_f64 v[152:153], v[200:201], s[0:1]
	v_accvgpr_read_b32 v154, a80
	v_add_f64 v[10:11], v[10:11], v[8:9]
	v_accvgpr_read_b32 v8, a46
	v_add_f64 v[14:15], v[122:123], -v[14:15]
	v_add_f64 v[16:17], v[18:19], v[16:17]
	v_add_f64 v[152:153], v[154:155], v[152:153]
	v_mul_f64 v[154:155], v[190:191], s[24:25]
	v_accvgpr_read_b32 v9, a47
	v_add_f64 v[14:15], v[14:15], v[16:17]
	v_add_f64 v[8:9], v[154:155], -v[8:9]
	v_add_f64 v[12:13], v[12:13], v[14:15]
	v_add_f64 v[8:9], v[8:9], v[12:13]
	;; [unrolled: 1-line block ×35, first 2 shown]
	v_accvgpr_read_b32 v16, a1
	v_accvgpr_read_b32 v254, a0
	v_add_f64 v[6:7], v[150:151], v[6:7]
	v_add_f64 v[12:13], v[12:13], v[92:93]
	v_lshlrev_b32_e32 v16, 4, v16
	v_add_f64 v[96:97], v[188:189], v[96:97]
	v_add_f64 v[6:7], v[152:153], v[6:7]
	ds_write_b128 v16, v[12:15]
	ds_write_b128 v16, v[8:11] offset:16
	ds_write_b128 v16, v[4:7] offset:32
	;; [unrolled: 1-line block ×16, first 2 shown]
.LBB0_7:
	s_or_b64 exec, exec, s[30:31]
	s_movk_i32 s0, 0xf1
	v_mul_lo_u16_sdwa v0, v193, s0 dst_sel:DWORD dst_unused:UNUSED_PAD src0_sel:BYTE_0 src1_sel:DWORD
	v_lshrrev_b16_e32 v28, 12, v0
	v_mul_lo_u16_e32 v0, 17, v28
	v_sub_u16_e32 v0, v193, v0
	v_and_b32_e32 v29, 0xff, v0
	s_movk_i32 s22, 0x90
	v_mov_b64_e32 v[0:1], s[10:11]
	v_mad_u64_u32 v[2:3], s[0:1], v29, s22, v[0:1]
	s_load_dwordx4 s[4:7], s[4:5], 0x0
	s_waitcnt lgkmcnt(0)
	s_barrier
	global_load_dwordx4 v[42:45], v[2:3], off
	global_load_dwordx4 v[38:41], v[2:3], off offset:16
	global_load_dwordx4 v[34:37], v[2:3], off offset:32
	;; [unrolled: 1-line block ×8, first 2 shown]
	ds_read_b128 v[64:67], v192
	ds_read_b128 v[2:5], v192 offset:2720
	ds_read_b128 v[6:9], v192 offset:5440
	;; [unrolled: 1-line block ×9, first 2 shown]
	s_mov_b32 s16, 0x134454ff
	s_mov_b32 s17, 0x3fee6f0e
	;; [unrolled: 1-line block ×12, first 2 shown]
	v_mad_u64_u32 v[0:1], s[22:23], v193, s22, v[0:1]
	s_waitcnt lgkmcnt(0)
	s_barrier
	s_waitcnt vmcnt(8)
	v_mul_f64 v[26:27], v[4:5], v[44:45]
	s_waitcnt vmcnt(7)
	v_mul_f64 v[82:83], v[8:9], v[40:41]
	v_mul_f64 v[80:81], v[2:3], v[44:45]
	;; [unrolled: 1-line block ×3, first 2 shown]
	s_waitcnt vmcnt(6)
	v_mul_f64 v[86:87], v[12:13], v[36:37]
	s_waitcnt vmcnt(5)
	v_mul_f64 v[90:91], v[16:17], v[32:33]
	;; [unrolled: 2-line block ×4, first 2 shown]
	v_fma_f64 v[26:27], v[2:3], v[42:43], -v[26:27]
	v_fma_f64 v[2:3], v[6:7], v[38:39], -v[82:83]
	v_mul_f64 v[88:89], v[10:11], v[36:37]
	v_mul_f64 v[96:97], v[18:19], v[60:61]
	s_waitcnt vmcnt(1)
	v_mul_f64 v[106:107], v[74:75], v[48:49]
	v_mul_f64 v[108:109], v[72:73], v[48:49]
	v_fmac_f64_e32 v[80:81], v[4:5], v[42:43]
	v_fmac_f64_e32 v[84:85], v[8:9], v[38:39]
	v_fma_f64 v[4:5], v[10:11], v[34:35], -v[86:87]
	v_fma_f64 v[6:7], v[14:15], v[30:31], -v[90:91]
	;; [unrolled: 1-line block ×4, first 2 shown]
	v_add_f64 v[18:19], v[64:65], v[2:3]
	v_mul_f64 v[92:93], v[14:15], v[32:33]
	v_mul_f64 v[100:101], v[22:23], v[56:57]
	;; [unrolled: 1-line block ×4, first 2 shown]
	v_fmac_f64_e32 v[96:97], v[20:21], v[58:59]
	v_fma_f64 v[14:15], v[72:73], v[46:47], -v[106:107]
	v_fmac_f64_e32 v[108:109], v[74:75], v[46:47]
	v_add_f64 v[20:21], v[6:7], v[10:11]
	v_add_f64 v[18:19], v[18:19], v[6:7]
	v_fmac_f64_e32 v[88:89], v[12:13], v[34:35]
	v_fmac_f64_e32 v[92:93], v[16:17], v[30:31]
	;; [unrolled: 1-line block ×3, first 2 shown]
	v_fma_f64 v[12:13], v[68:69], v[50:51], -v[102:103]
	v_fmac_f64_e32 v[104:105], v[70:71], v[50:51]
	v_add_f64 v[22:23], v[84:85], -v[108:109]
	v_add_f64 v[68:69], v[2:3], -v[6:7]
	;; [unrolled: 1-line block ×3, first 2 shown]
	v_fma_f64 v[74:75], -0.5, v[20:21], v[64:65]
	v_add_f64 v[18:19], v[18:19], v[10:11]
	v_add_f64 v[24:25], v[92:93], -v[100:101]
	v_add_f64 v[20:21], v[68:69], v[70:71]
	v_fma_f64 v[70:71], s[16:17], v[22:23], v[74:75]
	v_fmac_f64_e32 v[74:75], s[10:11], v[22:23]
	v_add_f64 v[68:69], v[18:19], v[14:15]
	v_add_f64 v[18:19], v[2:3], v[14:15]
	s_waitcnt vmcnt(0)
	v_mul_f64 v[110:111], v[78:79], v[222:223]
	v_fmac_f64_e32 v[70:71], s[18:19], v[24:25]
	v_fmac_f64_e32 v[74:75], s[14:15], v[24:25]
	v_fmac_f64_e32 v[64:65], -0.5, v[18:19]
	v_mul_f64 v[112:113], v[76:77], v[222:223]
	v_fma_f64 v[16:17], v[76:77], v[220:221], -v[110:111]
	v_fmac_f64_e32 v[70:71], s[0:1], v[20:21]
	v_fmac_f64_e32 v[74:75], s[0:1], v[20:21]
	v_fma_f64 v[76:77], s[10:11], v[24:25], v[64:65]
	v_add_f64 v[18:19], v[6:7], -v[2:3]
	v_add_f64 v[20:21], v[10:11], -v[14:15]
	v_fmac_f64_e32 v[64:65], s[16:17], v[24:25]
	v_fmac_f64_e32 v[76:77], s[18:19], v[22:23]
	v_add_f64 v[18:19], v[18:19], v[20:21]
	v_fmac_f64_e32 v[64:65], s[14:15], v[22:23]
	v_fmac_f64_e32 v[76:77], s[0:1], v[18:19]
	;; [unrolled: 1-line block ×3, first 2 shown]
	v_add_f64 v[18:19], v[66:67], v[84:85]
	v_add_f64 v[18:19], v[18:19], v[92:93]
	;; [unrolled: 1-line block ×3, first 2 shown]
	v_fmac_f64_e32 v[112:113], v[78:79], v[220:221]
	v_add_f64 v[78:79], v[18:19], v[108:109]
	v_add_f64 v[18:19], v[92:93], v[100:101]
	v_fma_f64 v[82:83], -0.5, v[18:19], v[66:67]
	v_add_f64 v[2:3], v[2:3], -v[14:15]
	v_fma_f64 v[86:87], s[10:11], v[2:3], v[82:83]
	v_add_f64 v[6:7], v[6:7], -v[10:11]
	v_add_f64 v[10:11], v[84:85], -v[92:93]
	v_add_f64 v[14:15], v[108:109], -v[100:101]
	v_fmac_f64_e32 v[82:83], s[16:17], v[2:3]
	v_fmac_f64_e32 v[86:87], s[14:15], v[6:7]
	v_add_f64 v[10:11], v[10:11], v[14:15]
	v_fmac_f64_e32 v[82:83], s[18:19], v[6:7]
	v_fmac_f64_e32 v[86:87], s[0:1], v[10:11]
	;; [unrolled: 1-line block ×3, first 2 shown]
	v_add_f64 v[10:11], v[84:85], v[108:109]
	v_fmac_f64_e32 v[66:67], -0.5, v[10:11]
	v_fma_f64 v[90:91], s[16:17], v[6:7], v[66:67]
	v_fmac_f64_e32 v[66:67], s[10:11], v[6:7]
	v_fmac_f64_e32 v[90:91], s[14:15], v[2:3]
	;; [unrolled: 1-line block ×3, first 2 shown]
	v_add_f64 v[2:3], v[26:27], v[4:5]
	v_add_f64 v[2:3], v[2:3], v[8:9]
	;; [unrolled: 1-line block ×3, first 2 shown]
	v_add_f64 v[10:11], v[92:93], -v[84:85]
	v_add_f64 v[14:15], v[100:101], -v[108:109]
	v_add_f64 v[6:7], v[2:3], v[16:17]
	v_add_f64 v[2:3], v[8:9], v[12:13]
	;; [unrolled: 1-line block ×3, first 2 shown]
	v_fma_f64 v[24:25], -0.5, v[2:3], v[26:27]
	v_add_f64 v[2:3], v[88:89], -v[112:113]
	v_fmac_f64_e32 v[90:91], s[0:1], v[10:11]
	v_fmac_f64_e32 v[66:67], s[0:1], v[10:11]
	v_fma_f64 v[20:21], s[16:17], v[2:3], v[24:25]
	v_add_f64 v[10:11], v[96:97], -v[104:105]
	v_add_f64 v[14:15], v[4:5], -v[8:9]
	;; [unrolled: 1-line block ×3, first 2 shown]
	v_fmac_f64_e32 v[24:25], s[10:11], v[2:3]
	v_fmac_f64_e32 v[20:21], s[18:19], v[10:11]
	v_add_f64 v[14:15], v[14:15], v[18:19]
	v_fmac_f64_e32 v[24:25], s[14:15], v[10:11]
	v_fmac_f64_e32 v[20:21], s[0:1], v[14:15]
	;; [unrolled: 1-line block ×3, first 2 shown]
	v_add_f64 v[14:15], v[4:5], v[16:17]
	v_fmac_f64_e32 v[26:27], -0.5, v[14:15]
	v_fma_f64 v[72:73], s[10:11], v[10:11], v[26:27]
	v_fmac_f64_e32 v[26:27], s[16:17], v[10:11]
	v_fmac_f64_e32 v[72:73], s[18:19], v[2:3]
	;; [unrolled: 1-line block ×3, first 2 shown]
	v_add_f64 v[2:3], v[80:81], v[88:89]
	v_add_f64 v[2:3], v[2:3], v[96:97]
	;; [unrolled: 1-line block ×5, first 2 shown]
	v_fma_f64 v[92:93], -0.5, v[2:3], v[80:81]
	v_add_f64 v[2:3], v[4:5], -v[16:17]
	v_add_f64 v[14:15], v[8:9], -v[4:5]
	;; [unrolled: 1-line block ×3, first 2 shown]
	v_fma_f64 v[16:17], s[10:11], v[2:3], v[92:93]
	v_add_f64 v[4:5], v[8:9], -v[12:13]
	v_add_f64 v[8:9], v[88:89], -v[96:97]
	;; [unrolled: 1-line block ×3, first 2 shown]
	v_fmac_f64_e32 v[92:93], s[16:17], v[2:3]
	v_fmac_f64_e32 v[16:17], s[14:15], v[4:5]
	v_add_f64 v[8:9], v[8:9], v[10:11]
	v_fmac_f64_e32 v[92:93], s[18:19], v[4:5]
	v_fmac_f64_e32 v[16:17], s[0:1], v[8:9]
	;; [unrolled: 1-line block ×3, first 2 shown]
	v_add_f64 v[8:9], v[88:89], v[112:113]
	v_fmac_f64_e32 v[80:81], -0.5, v[8:9]
	v_add_f64 v[14:15], v[14:15], v[18:19]
	v_fma_f64 v[8:9], s[16:17], v[4:5], v[80:81]
	v_add_f64 v[10:11], v[96:97], -v[88:89]
	v_add_f64 v[12:13], v[104:105], -v[112:113]
	v_fmac_f64_e32 v[80:81], s[10:11], v[4:5]
	v_fmac_f64_e32 v[72:73], s[0:1], v[14:15]
	;; [unrolled: 1-line block ×3, first 2 shown]
	v_add_f64 v[10:11], v[10:11], v[12:13]
	v_fmac_f64_e32 v[80:81], s[18:19], v[2:3]
	v_fmac_f64_e32 v[26:27], s[0:1], v[14:15]
	;; [unrolled: 1-line block ×4, first 2 shown]
	v_mul_f64 v[102:103], v[72:73], s[10:11]
	v_mul_f64 v[94:95], v[8:9], s[16:17]
	;; [unrolled: 1-line block ×3, first 2 shown]
	v_fmac_f64_e32 v[102:103], s[0:1], v[8:9]
	v_mul_f64 v[8:9], v[80:81], s[0:1]
	v_mul_f64 v[88:89], v[16:17], s[18:19]
	v_fma_f64 v[96:97], v[80:81], s[16:17], -v[4:5]
	v_mul_f64 v[4:5], v[24:25], s[20:21]
	v_mul_f64 v[100:101], v[20:21], s[14:15]
	v_fma_f64 v[8:9], v[26:27], s[10:11], -v[8:9]
	v_mul_f64 v[26:27], v[92:93], s[20:21]
	v_add_f64 v[2:3], v[68:69], v[6:7]
	v_fmac_f64_e32 v[88:89], s[20:21], v[20:21]
	v_fmac_f64_e32 v[94:95], s[0:1], v[72:73]
	v_fma_f64 v[98:99], v[92:93], s[18:19], -v[4:5]
	v_fmac_f64_e32 v[100:101], s[20:21], v[16:17]
	v_fma_f64 v[26:27], v[24:25], s[14:15], -v[26:27]
	v_add_f64 v[68:69], v[68:69], -v[6:7]
	v_mul_u32_u24_e32 v6, 0xaa, v28
	v_add_f64 v[10:11], v[70:71], v[88:89]
	v_add_f64 v[14:15], v[76:77], v[94:95]
	;; [unrolled: 1-line block ×7, first 2 shown]
	v_add_f64 v[72:73], v[70:71], -v[88:89]
	v_add_f64 v[76:77], v[76:77], -v[94:95]
	;; [unrolled: 1-line block ×9, first 2 shown]
	v_add_lshl_u32 v8, v6, v29, 4
	v_add_f64 v[12:13], v[86:87], v[100:101]
	v_add_f64 v[16:17], v[90:91], v[102:103]
	ds_write_b128 v8, v[2:5]
	ds_write_b128 v8, v[10:13] offset:272
	ds_write_b128 v8, v[14:17] offset:544
	;; [unrolled: 1-line block ×9, first 2 shown]
	s_waitcnt lgkmcnt(0)
	s_barrier
	global_load_dwordx4 v[76:79], v[0:1], off offset:2448
	global_load_dwordx4 v[72:75], v[0:1], off offset:2464
	;; [unrolled: 1-line block ×9, first 2 shown]
	ds_read_b128 v[132:135], v192
	ds_read_b128 v[0:3], v192 offset:2720
	ds_read_b128 v[4:7], v192 offset:5440
	ds_read_b128 v[10:13], v192 offset:8160
	ds_read_b128 v[14:17], v192 offset:10880
	ds_read_b128 v[18:21], v192 offset:13600
	ds_read_b128 v[22:25], v192 offset:16320
	ds_read_b128 v[100:103], v192 offset:19040
	ds_read_b128 v[104:107], v192 offset:21760
	ds_read_b128 v[108:111], v192 offset:24480
	s_waitcnt vmcnt(8) lgkmcnt(8)
	v_mul_f64 v[26:27], v[2:3], v[78:79]
	v_fma_f64 v[26:27], v[0:1], v[76:77], -v[26:27]
	v_mul_f64 v[0:1], v[0:1], v[78:79]
	v_fmac_f64_e32 v[0:1], v[2:3], v[76:77]
	s_waitcnt vmcnt(7) lgkmcnt(7)
	v_mul_f64 v[2:3], v[6:7], v[74:75]
	v_fma_f64 v[2:3], v[4:5], v[72:73], -v[2:3]
	v_mul_f64 v[4:5], v[4:5], v[74:75]
	v_fmac_f64_e32 v[4:5], v[6:7], v[72:73]
	;; [unrolled: 5-line block ×9, first 2 shown]
	v_add_f64 v[110:111], v[132:133], v[2:3]
	v_add_f64 v[110:111], v[110:111], v[12:13]
	;; [unrolled: 1-line block ×5, first 2 shown]
	v_fma_f64 v[122:123], -0.5, v[110:111], v[132:133]
	v_add_f64 v[110:111], v[4:5], -v[104:105]
	v_fma_f64 v[124:125], s[16:17], v[110:111], v[122:123]
	v_add_f64 v[112:113], v[14:15], -v[22:23]
	v_add_f64 v[114:115], v[2:3], -v[12:13]
	;; [unrolled: 1-line block ×3, first 2 shown]
	v_fmac_f64_e32 v[122:123], s[10:11], v[110:111]
	v_fmac_f64_e32 v[124:125], s[18:19], v[112:113]
	v_add_f64 v[114:115], v[114:115], v[116:117]
	v_fmac_f64_e32 v[122:123], s[14:15], v[112:113]
	v_fmac_f64_e32 v[124:125], s[0:1], v[114:115]
	;; [unrolled: 1-line block ×3, first 2 shown]
	v_add_f64 v[114:115], v[2:3], v[102:103]
	v_fmac_f64_e32 v[132:133], -0.5, v[114:115]
	v_fma_f64 v[126:127], s[10:11], v[112:113], v[132:133]
	v_fmac_f64_e32 v[132:133], s[16:17], v[112:113]
	v_fmac_f64_e32 v[126:127], s[18:19], v[110:111]
	;; [unrolled: 1-line block ×3, first 2 shown]
	v_add_f64 v[110:111], v[134:135], v[4:5]
	v_add_f64 v[110:111], v[110:111], v[14:15]
	;; [unrolled: 1-line block ×5, first 2 shown]
	v_add_f64 v[114:115], v[12:13], -v[2:3]
	v_fma_f64 v[138:139], -0.5, v[110:111], v[134:135]
	v_add_f64 v[2:3], v[2:3], -v[102:103]
	v_add_f64 v[116:117], v[20:21], -v[102:103]
	v_fma_f64 v[140:141], s[10:11], v[2:3], v[138:139]
	v_add_f64 v[12:13], v[12:13], -v[20:21]
	v_add_f64 v[20:21], v[4:5], -v[14:15]
	;; [unrolled: 1-line block ×3, first 2 shown]
	v_fmac_f64_e32 v[138:139], s[16:17], v[2:3]
	v_fmac_f64_e32 v[140:141], s[14:15], v[12:13]
	v_add_f64 v[20:21], v[20:21], v[102:103]
	v_fmac_f64_e32 v[138:139], s[18:19], v[12:13]
	v_fmac_f64_e32 v[140:141], s[0:1], v[20:21]
	;; [unrolled: 1-line block ×3, first 2 shown]
	v_add_f64 v[20:21], v[4:5], v[104:105]
	v_fmac_f64_e32 v[134:135], -0.5, v[20:21]
	v_fma_f64 v[20:21], s[16:17], v[12:13], v[134:135]
	v_add_f64 v[4:5], v[14:15], -v[4:5]
	v_add_f64 v[14:15], v[22:23], -v[104:105]
	v_fmac_f64_e32 v[134:135], s[10:11], v[12:13]
	v_fmac_f64_e32 v[20:21], s[14:15], v[2:3]
	v_add_f64 v[4:5], v[4:5], v[14:15]
	v_fmac_f64_e32 v[134:135], s[18:19], v[2:3]
	v_fmac_f64_e32 v[20:21], s[0:1], v[4:5]
	;; [unrolled: 1-line block ×3, first 2 shown]
	v_add_f64 v[4:5], v[16:17], v[24:25]
	v_fma_f64 v[4:5], -0.5, v[4:5], v[26:27]
	v_add_f64 v[12:13], v[10:11], -v[108:109]
	v_fma_f64 v[14:15], s[16:17], v[12:13], v[4:5]
	v_add_f64 v[22:23], v[18:19], -v[100:101]
	v_add_f64 v[102:103], v[6:7], -v[16:17]
	v_add_f64 v[104:105], v[106:107], -v[24:25]
	v_fmac_f64_e32 v[4:5], s[10:11], v[12:13]
	v_fmac_f64_e32 v[14:15], s[18:19], v[22:23]
	v_add_f64 v[102:103], v[102:103], v[104:105]
	v_fmac_f64_e32 v[4:5], s[14:15], v[22:23]
	v_fmac_f64_e32 v[14:15], s[0:1], v[102:103]
	;; [unrolled: 1-line block ×3, first 2 shown]
	v_add_f64 v[102:103], v[6:7], v[106:107]
	v_add_f64 v[2:3], v[26:27], v[6:7]
	v_fmac_f64_e32 v[26:27], -0.5, v[102:103]
	v_add_f64 v[2:3], v[2:3], v[16:17]
	v_fma_f64 v[110:111], s[10:11], v[22:23], v[26:27]
	v_add_f64 v[102:103], v[16:17], -v[6:7]
	v_add_f64 v[104:105], v[24:25], -v[106:107]
	v_fmac_f64_e32 v[26:27], s[16:17], v[22:23]
	v_add_f64 v[22:23], v[18:19], v[100:101]
	v_add_f64 v[2:3], v[2:3], v[24:25]
	v_fmac_f64_e32 v[110:111], s[18:19], v[12:13]
	v_add_f64 v[102:103], v[102:103], v[104:105]
	v_fmac_f64_e32 v[26:27], s[14:15], v[12:13]
	v_fma_f64 v[22:23], -0.5, v[22:23], v[0:1]
	v_add_f64 v[6:7], v[6:7], -v[106:107]
	v_add_f64 v[2:3], v[2:3], v[106:107]
	v_fmac_f64_e32 v[110:111], s[0:1], v[102:103]
	v_fmac_f64_e32 v[26:27], s[0:1], v[102:103]
	v_fma_f64 v[106:107], s[10:11], v[6:7], v[22:23]
	v_add_f64 v[16:17], v[16:17], -v[24:25]
	v_add_f64 v[24:25], v[10:11], -v[18:19]
	;; [unrolled: 1-line block ×3, first 2 shown]
	v_fmac_f64_e32 v[22:23], s[16:17], v[6:7]
	v_fmac_f64_e32 v[106:107], s[14:15], v[16:17]
	v_add_f64 v[24:25], v[24:25], v[102:103]
	v_fmac_f64_e32 v[22:23], s[18:19], v[16:17]
	v_fmac_f64_e32 v[106:107], s[0:1], v[24:25]
	;; [unrolled: 1-line block ×3, first 2 shown]
	v_add_f64 v[24:25], v[10:11], v[108:109]
	v_add_f64 v[12:13], v[0:1], v[10:11]
	v_fmac_f64_e32 v[0:1], -0.5, v[24:25]
	v_add_f64 v[12:13], v[12:13], v[18:19]
	v_fma_f64 v[24:25], s[16:17], v[16:17], v[0:1]
	v_add_f64 v[10:11], v[18:19], -v[10:11]
	v_add_f64 v[18:19], v[100:101], -v[108:109]
	v_fmac_f64_e32 v[0:1], s[10:11], v[16:17]
	v_fmac_f64_e32 v[24:25], s[14:15], v[6:7]
	v_add_f64 v[10:11], v[10:11], v[18:19]
	v_fmac_f64_e32 v[0:1], s[18:19], v[6:7]
	v_fmac_f64_e32 v[24:25], s[0:1], v[10:11]
	v_fmac_f64_e32 v[0:1], s[0:1], v[10:11]
	v_mul_f64 v[6:7], v[106:107], s[18:19]
	v_mul_f64 v[16:17], v[26:27], s[0:1]
	;; [unrolled: 1-line block ×3, first 2 shown]
	v_add_f64 v[114:115], v[114:115], v[116:117]
	v_add_f64 v[12:13], v[12:13], v[100:101]
	v_fmac_f64_e32 v[6:7], s[20:21], v[14:15]
	v_mul_f64 v[10:11], v[24:25], s[16:17]
	v_fma_f64 v[16:17], v[0:1], s[16:17], -v[16:17]
	v_fma_f64 v[18:19], v[22:23], s[18:19], -v[18:19]
	v_mul_f64 v[14:15], v[14:15], s[14:15]
	v_mul_f64 v[142:143], v[110:111], s[10:11]
	;; [unrolled: 1-line block ×4, first 2 shown]
	v_fmac_f64_e32 v[126:127], s[0:1], v[114:115]
	v_fmac_f64_e32 v[132:133], s[0:1], v[114:115]
	v_add_f64 v[12:13], v[12:13], v[108:109]
	v_fmac_f64_e32 v[10:11], s[0:1], v[110:111]
	v_fmac_f64_e32 v[14:15], s[20:21], v[106:107]
	;; [unrolled: 1-line block ×3, first 2 shown]
	v_fma_f64 v[0:1], v[26:27], s[10:11], -v[0:1]
	v_fma_f64 v[4:5], v[4:5], s[14:15], -v[22:23]
	v_add_f64 v[100:101], v[120:121], v[2:3]
	v_add_f64 v[104:105], v[124:125], v[6:7]
	;; [unrolled: 1-line block ×10, first 2 shown]
	v_add_f64 v[120:121], v[120:121], -v[2:3]
	v_add_f64 v[124:125], v[124:125], -v[6:7]
	;; [unrolled: 1-line block ×10, first 2 shown]
	ds_write_b128 v192, v[100:103]
	ds_write_b128 v192, v[104:107] offset:2720
	ds_write_b128 v192, v[108:111] offset:5440
	;; [unrolled: 1-line block ×9, first 2 shown]
	s_waitcnt lgkmcnt(0)
	s_barrier
	s_and_saveexec_b64 s[10:11], s[2:3]
	s_cbranch_execz .LBB0_9
; %bb.8:
	v_mov_b32_e32 v2, v193
	v_mov_b32_e32 v193, 0
	v_lshl_add_u64 v[0:1], s[8:9], 0, v[192:193]
	s_mov_b64 s[0:1], 0x6a40
	v_mov_b32_e32 v193, v2
	v_lshl_add_u64 v[2:3], v[0:1], 0, s[0:1]
	s_mov_b32 s0, 0x8000
	global_load_dwordx4 v[140:143], v[2:3], off offset:1600
	global_load_dwordx4 v[144:147], v[2:3], off offset:3200
	v_add_co_u32_e64 v2, s[0:1], s0, v0
	v_add_co_u32_e32 v4, vcc, 0x6000, v0
	s_nop 0
	v_addc_co_u32_e64 v3, s[0:1], 0, v1, s[0:1]
	v_addc_co_u32_e32 v5, vcc, 0, v1, vcc
	s_movk_i32 s0, 0x7000
	global_load_dwordx4 v[148:151], v[2:3], off offset:832
	global_load_dwordx4 v[152:155], v[4:5], off offset:2624
	v_add_co_u32_e32 v4, vcc, s0, v0
	s_mov_b32 s0, 0x9000
	s_nop 0
	v_addc_co_u32_e32 v5, vcc, 0, v1, vcc
	global_load_dwordx4 v[156:159], v[4:5], off offset:3328
	global_load_dwordx4 v[160:163], v[2:3], off offset:2432
	;; [unrolled: 1-line block ×3, first 2 shown]
	v_add_co_u32_e32 v2, vcc, s0, v0
	s_mov_b32 s0, 0xa000
	s_nop 0
	v_addc_co_u32_e32 v3, vcc, 0, v1, vcc
	global_load_dwordx4 v[164:167], v[2:3], off offset:1536
	global_load_dwordx4 v[176:179], v[2:3], off offset:3136
	v_add_co_u32_e32 v6, vcc, s0, v0
	s_mov_b32 s0, 0xb000
	s_nop 0
	v_addc_co_u32_e32 v7, vcc, 0, v1, vcc
	global_load_dwordx4 v[172:175], v[6:7], off offset:640
	global_load_dwordx4 v[180:183], v[6:7], off offset:2240
	ds_read_b128 v[2:5], v192
	ds_read_b128 v[10:13], v192 offset:1600
	global_load_dwordx4 v[14:17], v[6:7], off offset:3840
	v_add_co_u32_e32 v6, vcc, s0, v0
	ds_read_b128 v[18:21], v192 offset:3200
	ds_read_b128 v[22:25], v192 offset:4800
	v_addc_co_u32_e32 v7, vcc, 0, v1, vcc
	global_load_dwordx4 v[184:187], v[6:7], off offset:1344
	ds_read_b128 v[188:191], v192 offset:6400
	ds_read_b128 v[194:197], v192 offset:8000
	global_load_dwordx4 v[198:201], v[6:7], off offset:2944
	s_mov_b32 s0, 0xc000
	v_add_co_u32_e32 v0, vcc, s0, v0
	s_waitcnt vmcnt(13) lgkmcnt(4)
	v_mul_f64 v[216:217], v[10:11], v[142:143]
	v_addc_co_u32_e32 v1, vcc, 0, v1, vcc
	global_load_dwordx4 v[202:205], v[0:1], off offset:448
	global_load_dwordx4 v[206:209], v[0:1], off offset:2048
	;; [unrolled: 1-line block ×3, first 2 shown]
	v_mul_f64 v[0:1], v[12:13], v[142:143]
	s_waitcnt vmcnt(15) lgkmcnt(3)
	v_mul_f64 v[6:7], v[20:21], v[146:147]
	v_mul_f64 v[142:143], v[18:19], v[146:147]
	v_fma_f64 v[214:215], v[10:11], v[140:141], -v[0:1]
	v_fmac_f64_e32 v[216:217], v[12:13], v[140:141]
	v_fma_f64 v[140:141], v[18:19], v[144:145], -v[6:7]
	v_fmac_f64_e32 v[142:143], v[20:21], v[144:145]
	s_waitcnt vmcnt(14) lgkmcnt(1)
	v_mul_f64 v[26:27], v[190:191], v[150:151]
	v_mul_f64 v[146:147], v[188:189], v[150:151]
	s_waitcnt vmcnt(13)
	v_mul_f64 v[218:219], v[4:5], v[154:155]
	v_mul_f64 v[150:151], v[2:3], v[154:155]
	v_fma_f64 v[144:145], v[188:189], v[148:149], -v[26:27]
	v_fmac_f64_e32 v[146:147], v[190:191], v[148:149]
	s_waitcnt vmcnt(12)
	v_mul_f64 v[0:1], v[24:25], v[158:159]
	v_mul_f64 v[6:7], v[22:23], v[158:159]
	v_fma_f64 v[148:149], v[2:3], v[152:153], -v[218:219]
	v_fmac_f64_e32 v[150:151], v[4:5], v[152:153]
	ds_write_b128 v192, v[214:217] offset:1600
	ds_write_b128 v192, v[140:143] offset:3200
	v_fma_f64 v[4:5], v[22:23], v[156:157], -v[0:1]
	v_fmac_f64_e32 v[6:7], v[24:25], v[156:157]
	ds_write_b128 v192, v[148:151]
	ds_write_b128 v192, v[4:7] offset:4800
	ds_write_b128 v192, v[144:147] offset:6400
	ds_read_b128 v[4:7], v192 offset:9600
	s_waitcnt vmcnt(11) lgkmcnt(6)
	v_mul_f64 v[0:1], v[196:197], v[162:163]
	v_mul_f64 v[2:3], v[194:195], v[162:163]
	v_fma_f64 v[0:1], v[194:195], v[160:161], -v[0:1]
	v_fmac_f64_e32 v[2:3], v[196:197], v[160:161]
	ds_write_b128 v192, v[0:3] offset:8000
	ds_read_b128 v[0:3], v192 offset:11200
	s_waitcnt vmcnt(10) lgkmcnt(2)
	v_mul_f64 v[10:11], v[6:7], v[170:171]
	v_mul_f64 v[12:13], v[4:5], v[170:171]
	v_fma_f64 v[10:11], v[4:5], v[168:169], -v[10:11]
	v_fmac_f64_e32 v[12:13], v[6:7], v[168:169]
	;; [unrolled: 7-line block ×3, first 2 shown]
	ds_read_b128 v[0:3], v192 offset:14400
	ds_write_b128 v192, v[4:7] offset:11200
	s_waitcnt vmcnt(8) lgkmcnt(2)
	v_mul_f64 v[4:5], v[12:13], v[178:179]
	v_mul_f64 v[6:7], v[10:11], v[178:179]
	v_fma_f64 v[4:5], v[10:11], v[176:177], -v[4:5]
	v_fmac_f64_e32 v[6:7], v[12:13], v[176:177]
	ds_read_b128 v[10:13], v192 offset:16000
	ds_write_b128 v192, v[4:7] offset:12800
	s_waitcnt vmcnt(7) lgkmcnt(3)
	v_mul_f64 v[4:5], v[2:3], v[174:175]
	v_mul_f64 v[6:7], v[0:1], v[174:175]
	v_fma_f64 v[4:5], v[0:1], v[172:173], -v[4:5]
	v_fmac_f64_e32 v[6:7], v[2:3], v[172:173]
	;; [unrolled: 7-line block ×7, first 2 shown]
	ds_write_b128 v192, v[4:7] offset:22400
	ds_read_b128 v[4:7], v192 offset:25600
	s_waitcnt vmcnt(1) lgkmcnt(3)
	v_mul_f64 v[10:11], v[2:3], v[208:209]
	v_mul_f64 v[12:13], v[0:1], v[208:209]
	v_fma_f64 v[10:11], v[0:1], v[206:207], -v[10:11]
	v_fmac_f64_e32 v[12:13], v[2:3], v[206:207]
	s_waitcnt vmcnt(0) lgkmcnt(0)
	v_mul_f64 v[0:1], v[6:7], v[212:213]
	v_mul_f64 v[2:3], v[4:5], v[212:213]
	v_fma_f64 v[0:1], v[4:5], v[210:211], -v[0:1]
	v_fmac_f64_e32 v[2:3], v[6:7], v[210:211]
	ds_write_b128 v192, v[10:13] offset:24000
	ds_write_b128 v192, v[0:3] offset:25600
.LBB0_9:
	s_or_b64 exec, exec, s[10:11]
	s_waitcnt lgkmcnt(0)
	s_barrier
	s_and_saveexec_b64 s[0:1], s[2:3]
	s_cbranch_execz .LBB0_11
; %bb.10:
	ds_read_b128 v[100:103], v192
	ds_read_b128 v[104:107], v192 offset:1600
	ds_read_b128 v[108:111], v192 offset:3200
	;; [unrolled: 1-line block ×16, first 2 shown]
.LBB0_11:
	s_or_b64 exec, exec, s[0:1]
	s_waitcnt lgkmcnt(0)
	s_barrier
	s_and_saveexec_b64 s[0:1], s[2:3]
	s_cbranch_execz .LBB0_13
; %bb.12:
	v_accvgpr_write_b32 a42, v68
	v_accvgpr_write_b32 a38, v64
	;; [unrolled: 1-line block ×6, first 2 shown]
	v_accvgpr_read_b32 v71, a25
	v_accvgpr_write_b32 a39, v65
	v_accvgpr_write_b32 a40, v66
	v_accvgpr_write_b32 a41, v67
	v_accvgpr_read_b32 v67, a21
	v_accvgpr_write_b32 a47, v73
	v_accvgpr_write_b32 a48, v74
	;; [unrolled: 1-line block ×3, first 2 shown]
	v_accvgpr_read_b32 v75, a29
	v_accvgpr_read_b32 v70, a24
	;; [unrolled: 1-line block ×7, first 2 shown]
	v_accvgpr_write_b32 a22, v50
	v_accvgpr_write_b32 a18, v46
	v_accvgpr_read_b32 v74, a28
	v_accvgpr_read_b32 v73, a27
	;; [unrolled: 1-line block ×3, first 2 shown]
	v_accvgpr_write_b32 a26, v54
	v_accvgpr_write_b32 a23, v51
	;; [unrolled: 1-line block ×7, first 2 shown]
	v_accvgpr_read_b32 v51, a5
	v_accvgpr_write_b32 a30, v58
	v_accvgpr_write_b32 a27, v55
	;; [unrolled: 1-line block ×4, first 2 shown]
	v_accvgpr_read_b32 v55, a9
	v_accvgpr_read_b32 v49, a3
	;; [unrolled: 1-line block ×3, first 2 shown]
	s_mov_b32 s36, 0xacd6c6b4
	v_accvgpr_write_b32 a31, v59
	v_accvgpr_write_b32 a32, v60
	;; [unrolled: 1-line block ×3, first 2 shown]
	v_accvgpr_read_b32 v59, a13
	v_accvgpr_read_b32 v53, a7
	;; [unrolled: 1-line block ×3, first 2 shown]
	s_mov_b32 s40, 0x5d8e7cdc
	v_accvgpr_read_b32 v50, a4
	v_add_f64 v[242:243], v[104:105], -v[48:49]
	s_mov_b32 s37, 0xbfc7851a
	s_mov_b32 s30, 0x7faef3
	v_accvgpr_read_b32 v63, a17
	v_accvgpr_read_b32 v57, a11
	v_accvgpr_read_b32 v56, a10
	s_mov_b32 s34, 0x4363dd80
	v_accvgpr_read_b32 v54, a8
	v_add_f64 v[240:241], v[108:109], -v[52:53]
	s_mov_b32 s41, 0x3fd71e95
	s_mov_b32 s26, 0x370991
	v_mul_f64 v[144:145], v[242:243], s[36:37]
	v_add_f64 v[218:219], v[106:107], v[50:51]
	s_mov_b32 s31, 0xbfef7484
	v_accvgpr_read_b32 v61, a15
	v_accvgpr_read_b32 v60, a14
	v_accvgpr_write_b32 a34, v220
	s_mov_b32 s46, 0x2a9d6da3
	v_accvgpr_read_b32 v58, a12
	v_add_f64 v[232:233], v[112:113], -v[56:57]
	s_mov_b32 s35, 0xbfe0d888
	s_mov_b32 s24, 0x910ea3b9
	v_mul_f64 v[26:27], v[240:241], s[40:41]
	v_add_f64 v[214:215], v[110:111], v[54:55]
	s_mov_b32 s27, 0x3fedd6d0
	v_fma_f64 v[142:143], s[30:31], v[218:219], v[144:145]
	s_mov_b32 s28, 0x6c9a05f6
	v_accvgpr_read_b32 v62, a16
	v_accvgpr_write_b32 a35, v221
	v_accvgpr_write_b32 a36, v222
	;; [unrolled: 1-line block ×3, first 2 shown]
	v_add_f64 v[220:221], v[116:117], -v[60:61]
	s_mov_b32 s47, 0x3fe58eea
	s_mov_b32 s20, 0x75d4884
	v_mul_f64 v[22:23], v[232:233], s[34:35]
	v_add_f64 v[210:211], v[114:115], v[58:59]
	s_mov_b32 s25, 0xbfeb34fa
	v_fma_f64 v[140:141], s[26:27], v[214:215], v[26:27]
	v_add_f64 v[142:143], v[102:103], v[142:143]
	s_mov_b32 s38, 0x7c9e640b
	v_add_f64 v[216:217], v[120:121], -v[64:65]
	s_mov_b32 s29, 0xbfe9895b
	s_mov_b32 s18, 0x6ed5f1bb
	v_mul_f64 v[18:19], v[220:221], s[46:47]
	v_add_f64 v[206:207], v[118:119], v[62:63]
	s_mov_b32 s21, 0x3fe7a5f6
	v_fma_f64 v[24:25], s[24:25], v[210:211], v[22:23]
	v_add_f64 v[140:141], v[140:141], v[142:143]
	s_mov_b32 s22, 0x923c349f
	;; [unrolled: 9-line block ×3, first 2 shown]
	v_add_f64 v[208:209], v[128:129], -v[72:73]
	s_mov_b32 s23, 0xbfeec746
	s_mov_b32 s14, 0xc61f0d01
	v_mul_f64 v[10:11], v[212:213], s[38:39]
	v_add_f64 v[200:201], v[126:127], v[70:71]
	s_mov_b32 s17, 0x3fdc86fa
	v_fma_f64 v[16:17], s[18:19], v[202:203], v[14:15]
	v_add_f64 v[20:21], v[20:21], v[24:25]
	v_add_f64 v[204:205], v[132:133], -v[136:137]
	s_mov_b32 s51, 0x3fefdd0d
	s_mov_b32 s10, 0x3259b75e
	v_mul_f64 v[4:5], v[208:209], s[22:23]
	v_add_f64 v[198:199], v[130:131], v[74:75]
	s_mov_b32 s15, 0xbfd183b1
	v_fma_f64 v[12:13], s[16:17], v[200:201], v[10:11]
	v_add_f64 v[16:17], v[16:17], v[20:21]
	v_mul_f64 v[2:3], v[204:205], s[50:51]
	v_add_f64 v[196:197], v[134:135], v[138:139]
	s_mov_b32 s11, 0x3fb79ee6
	v_fma_f64 v[6:7], s[14:15], v[198:199], v[4:5]
	v_add_f64 v[12:13], v[12:13], v[16:17]
	v_fma_f64 v[0:1], s[10:11], v[196:197], v[2:3]
	v_add_f64 v[6:7], v[6:7], v[12:13]
	v_add_f64 v[142:143], v[0:1], v[6:7]
	v_add_f64 v[0:1], v[106:107], -v[50:51]
	v_add_f64 v[194:195], v[110:111], -v[54:55]
	v_add_f64 v[238:239], v[104:105], v[48:49]
	v_mul_f64 v[162:163], v[0:1], s[36:37]
	v_accvgpr_write_b32 a0, v254
	v_add_f64 v[254:255], v[114:115], -v[58:59]
	v_add_f64 v[236:237], v[108:109], v[52:53]
	v_mul_f64 v[158:159], v[194:195], s[40:41]
	v_fma_f64 v[164:165], v[238:239], s[30:31], -v[162:163]
	v_add_f64 v[252:253], v[118:119], -v[62:63]
	v_add_f64 v[234:235], v[112:113], v[56:57]
	v_mul_f64 v[154:155], v[254:255], s[34:35]
	v_fma_f64 v[160:161], v[236:237], s[26:27], -v[158:159]
	v_add_f64 v[164:165], v[100:101], v[164:165]
	v_add_f64 v[250:251], v[122:123], -v[66:67]
	v_add_f64 v[230:231], v[116:117], v[60:61]
	v_mul_f64 v[150:151], v[252:253], s[46:47]
	v_fma_f64 v[156:157], v[234:235], s[24:25], -v[154:155]
	v_add_f64 v[160:161], v[160:161], v[164:165]
	;; [unrolled: 5-line block ×5, first 2 shown]
	v_add_f64 v[222:223], v[132:133], v[136:137]
	v_mul_f64 v[6:7], v[244:245], s[50:51]
	v_fma_f64 v[20:21], v[224:225], s[14:15], -v[16:17]
	v_add_f64 v[140:141], v[140:141], v[146:147]
	v_fma_f64 v[12:13], v[222:223], s[10:11], -v[6:7]
	v_add_f64 v[20:21], v[20:21], v[140:141]
	v_add_f64 v[140:141], v[12:13], v[20:21]
	v_fma_f64 v[12:13], v[202:203], s[18:19], -v[14:15]
	v_fma_f64 v[14:15], v[206:207], s[20:21], -v[18:19]
	;; [unrolled: 1-line block ×5, first 2 shown]
	v_add_f64 v[22:23], v[102:103], v[22:23]
	v_add_f64 v[20:21], v[20:21], v[22:23]
	;; [unrolled: 1-line block ×4, first 2 shown]
	v_fma_f64 v[10:11], v[200:201], s[16:17], -v[10:11]
	v_add_f64 v[12:13], v[12:13], v[14:15]
	v_fma_f64 v[4:5], v[198:199], s[14:15], -v[4:5]
	v_add_f64 v[10:11], v[10:11], v[12:13]
	;; [unrolled: 2-line block ×3, first 2 shown]
	v_fmac_f64_e32 v[162:163], s[30:31], v[238:239]
	v_add_f64 v[146:147], v[2:3], v[4:5]
	v_fmac_f64_e32 v[158:159], s[26:27], v[236:237]
	v_add_f64 v[2:3], v[100:101], v[162:163]
	;; [unrolled: 2-line block ×5, first 2 shown]
	v_mul_f64 v[154:155], v[242:243], s[34:35]
	v_fmac_f64_e32 v[24:25], s[16:17], v[226:227]
	v_add_f64 v[2:3], v[148:149], v[2:3]
	s_mov_b32 s45, 0xbfefdd0d
	s_mov_b32 s44, s50
	v_mul_f64 v[152:153], v[240:241], s[38:39]
	v_fma_f64 v[150:151], s[24:25], v[218:219], v[154:155]
	v_add_f64 v[2:3], v[24:25], v[2:3]
	s_mov_b32 s57, 0x3fe9895b
	s_mov_b32 s56, s28
	v_mul_f64 v[24:25], v[232:233], s[44:45]
	v_fma_f64 v[148:149], s[16:17], v[214:215], v[152:153]
	v_add_f64 v[150:151], v[102:103], v[150:151]
	v_mul_f64 v[170:171], v[0:1], s[34:35]
	v_fmac_f64_e32 v[16:17], s[14:15], v[224:225]
	s_mov_b32 s43, 0xbfd71e95
	s_mov_b32 s42, s40
	v_mul_f64 v[20:21], v[220:221], s[56:57]
	v_fma_f64 v[26:27], s[10:11], v[210:211], v[24:25]
	v_add_f64 v[148:149], v[148:149], v[150:151]
	v_mul_f64 v[166:167], v[194:195], s[38:39]
	v_fma_f64 v[172:173], v[238:239], s[24:25], -v[170:171]
	v_add_f64 v[2:3], v[16:17], v[2:3]
	v_mul_f64 v[16:17], v[216:217], s[42:43]
	v_fma_f64 v[22:23], s[18:19], v[206:207], v[20:21]
	v_add_f64 v[26:27], v[26:27], v[148:149]
	v_mul_f64 v[162:163], v[254:255], s[44:45]
	v_fma_f64 v[168:169], v[236:237], s[16:17], -v[166:167]
	v_add_f64 v[172:173], v[100:101], v[172:173]
	v_fmac_f64_e32 v[6:7], s[10:11], v[222:223]
	v_mul_f64 v[12:13], v[212:213], s[36:37]
	v_fma_f64 v[18:19], s[26:27], v[202:203], v[16:17]
	v_add_f64 v[22:23], v[22:23], v[26:27]
	v_mul_f64 v[158:159], v[252:253], s[56:57]
	v_fma_f64 v[164:165], v[234:235], s[10:11], -v[162:163]
	v_add_f64 v[168:169], v[168:169], v[172:173]
	v_add_f64 v[144:145], v[6:7], v[2:3]
	v_mul_f64 v[6:7], v[208:209], s[46:47]
	v_fma_f64 v[14:15], s[30:31], v[200:201], v[12:13]
	v_add_f64 v[18:19], v[18:19], v[22:23]
	v_mul_f64 v[156:157], v[250:251], s[42:43]
	v_fma_f64 v[160:161], v[230:231], s[18:19], -v[158:159]
	v_add_f64 v[164:165], v[164:165], v[168:169]
	v_mul_f64 v[2:3], v[204:205], s[22:23]
	v_fma_f64 v[10:11], s[20:21], v[198:199], v[6:7]
	v_add_f64 v[14:15], v[14:15], v[18:19]
	v_mul_f64 v[22:23], v[248:249], s[36:37]
	v_fma_f64 v[148:149], v[228:229], s[26:27], -v[156:157]
	v_add_f64 v[160:161], v[160:161], v[164:165]
	v_fma_f64 v[4:5], s[14:15], v[196:197], v[2:3]
	v_add_f64 v[10:11], v[10:11], v[14:15]
	v_mul_f64 v[14:15], v[246:247], s[46:47]
	v_fma_f64 v[26:27], v[226:227], s[30:31], -v[22:23]
	v_add_f64 v[148:149], v[148:149], v[160:161]
	v_add_f64 v[150:151], v[4:5], v[10:11]
	v_mul_f64 v[4:5], v[244:245], s[22:23]
	v_fma_f64 v[18:19], v[224:225], s[20:21], -v[14:15]
	v_add_f64 v[26:27], v[26:27], v[148:149]
	v_fma_f64 v[10:11], v[222:223], s[14:15], -v[4:5]
	v_add_f64 v[18:19], v[18:19], v[26:27]
	v_add_f64 v[148:149], v[10:11], v[18:19]
	v_fma_f64 v[18:19], v[210:211], s[10:11], -v[24:25]
	v_fma_f64 v[24:25], v[218:219], s[24:25], -v[154:155]
	;; [unrolled: 1-line block ×6, first 2 shown]
	v_add_f64 v[24:25], v[102:103], v[24:25]
	v_add_f64 v[20:21], v[20:21], v[24:25]
	;; [unrolled: 1-line block ×5, first 2 shown]
	v_fma_f64 v[6:7], v[198:199], s[20:21], -v[6:7]
	v_add_f64 v[10:11], v[10:11], v[12:13]
	v_fma_f64 v[2:3], v[196:197], s[14:15], -v[2:3]
	v_add_f64 v[6:7], v[6:7], v[10:11]
	v_fmac_f64_e32 v[170:171], s[24:25], v[238:239]
	v_add_f64 v[154:155], v[2:3], v[6:7]
	v_fmac_f64_e32 v[166:167], s[16:17], v[236:237]
	;; [unrolled: 2-line block ×4, first 2 shown]
	v_add_f64 v[2:3], v[162:163], v[2:3]
	s_mov_b32 s55, 0x3feec746
	s_mov_b32 s54, s22
	v_mul_f64 v[162:163], v[242:243], s[28:29]
	v_fmac_f64_e32 v[156:157], s[26:27], v[228:229]
	v_add_f64 v[2:3], v[158:159], v[2:3]
	v_mul_f64 v[160:161], v[240:241], s[54:55]
	v_fma_f64 v[158:159], s[18:19], v[218:219], v[162:163]
	v_add_f64 v[2:3], v[156:157], v[2:3]
	v_mul_f64 v[24:25], v[232:233], s[42:43]
	v_fma_f64 v[156:157], s[14:15], v[214:215], v[160:161]
	v_add_f64 v[158:159], v[102:103], v[158:159]
	v_mul_f64 v[178:179], v[0:1], s[28:29]
	v_fmac_f64_e32 v[22:23], s[30:31], v[226:227]
	v_mul_f64 v[20:21], v[220:221], s[34:35]
	v_fma_f64 v[26:27], s[26:27], v[210:211], v[24:25]
	v_add_f64 v[156:157], v[156:157], v[158:159]
	v_mul_f64 v[174:175], v[194:195], s[54:55]
	v_fma_f64 v[180:181], v[238:239], s[18:19], -v[178:179]
	v_add_f64 v[2:3], v[22:23], v[2:3]
	s_mov_b32 s49, 0xbfe58eea
	s_mov_b32 s48, s46
	v_mul_f64 v[16:17], v[216:217], s[50:51]
	v_fma_f64 v[22:23], s[24:25], v[206:207], v[20:21]
	v_add_f64 v[26:27], v[26:27], v[156:157]
	v_mul_f64 v[170:171], v[254:255], s[42:43]
	v_fma_f64 v[176:177], v[236:237], s[14:15], -v[174:175]
	v_add_f64 v[180:181], v[100:101], v[180:181]
	v_fmac_f64_e32 v[14:15], s[20:21], v[224:225]
	v_mul_f64 v[12:13], v[212:213], s[48:49]
	v_fma_f64 v[18:19], s[10:11], v[202:203], v[16:17]
	v_add_f64 v[22:23], v[22:23], v[26:27]
	v_mul_f64 v[166:167], v[252:253], s[34:35]
	v_fma_f64 v[172:173], v[234:235], s[26:27], -v[170:171]
	v_add_f64 v[176:177], v[176:177], v[180:181]
	v_fmac_f64_e32 v[4:5], s[14:15], v[222:223]
	v_add_f64 v[2:3], v[14:15], v[2:3]
	v_mul_f64 v[6:7], v[208:209], s[36:37]
	v_fma_f64 v[14:15], s[20:21], v[200:201], v[12:13]
	v_add_f64 v[18:19], v[18:19], v[22:23]
	v_mul_f64 v[164:165], v[250:251], s[50:51]
	v_fma_f64 v[168:169], v[230:231], s[24:25], -v[166:167]
	v_add_f64 v[172:173], v[172:173], v[176:177]
	v_add_f64 v[152:153], v[4:5], v[2:3]
	v_mul_f64 v[2:3], v[204:205], s[38:39]
	v_fma_f64 v[10:11], s[30:31], v[198:199], v[6:7]
	v_add_f64 v[14:15], v[14:15], v[18:19]
	v_mul_f64 v[22:23], v[248:249], s[48:49]
	v_fma_f64 v[156:157], v[228:229], s[10:11], -v[164:165]
	v_add_f64 v[168:169], v[168:169], v[172:173]
	v_fma_f64 v[4:5], s[16:17], v[196:197], v[2:3]
	v_add_f64 v[10:11], v[10:11], v[14:15]
	v_mul_f64 v[14:15], v[246:247], s[36:37]
	v_fma_f64 v[26:27], v[226:227], s[20:21], -v[22:23]
	v_add_f64 v[156:157], v[156:157], v[168:169]
	v_add_f64 v[158:159], v[4:5], v[10:11]
	v_mul_f64 v[4:5], v[244:245], s[38:39]
	v_fma_f64 v[18:19], v[224:225], s[30:31], -v[14:15]
	v_add_f64 v[26:27], v[26:27], v[156:157]
	v_fma_f64 v[10:11], v[222:223], s[16:17], -v[4:5]
	v_add_f64 v[18:19], v[18:19], v[26:27]
	v_add_f64 v[156:157], v[10:11], v[18:19]
	v_fma_f64 v[18:19], v[210:211], s[26:27], -v[24:25]
	v_fma_f64 v[24:25], v[218:219], s[18:19], -v[162:163]
	;; [unrolled: 1-line block ×6, first 2 shown]
	v_add_f64 v[24:25], v[102:103], v[24:25]
	v_add_f64 v[20:21], v[20:21], v[24:25]
	;; [unrolled: 1-line block ×5, first 2 shown]
	v_fma_f64 v[6:7], v[198:199], s[30:31], -v[6:7]
	v_add_f64 v[10:11], v[10:11], v[12:13]
	v_fma_f64 v[2:3], v[196:197], s[16:17], -v[2:3]
	v_add_f64 v[6:7], v[6:7], v[10:11]
	v_fmac_f64_e32 v[178:179], s[18:19], v[238:239]
	v_add_f64 v[162:163], v[2:3], v[6:7]
	v_fmac_f64_e32 v[174:175], s[14:15], v[236:237]
	v_add_f64 v[2:3], v[100:101], v[178:179]
	v_fmac_f64_e32 v[170:171], s[26:27], v[234:235]
	v_add_f64 v[2:3], v[174:175], v[2:3]
	v_fmac_f64_e32 v[166:167], s[24:25], v[230:231]
	v_add_f64 v[2:3], v[170:171], v[2:3]
	s_mov_b32 s59, 0x3fe0d888
	s_mov_b32 s58, s34
	v_mul_f64 v[170:171], v[242:243], s[22:23]
	v_fmac_f64_e32 v[164:165], s[10:11], v[228:229]
	v_add_f64 v[2:3], v[166:167], v[2:3]
	v_mul_f64 v[168:169], v[240:241], s[58:59]
	v_fma_f64 v[166:167], s[14:15], v[218:219], v[170:171]
	v_add_f64 v[2:3], v[164:165], v[2:3]
	s_mov_b32 s53, 0xbfeca52d
	s_mov_b32 s52, s38
	v_mul_f64 v[24:25], v[232:233], s[46:47]
	v_fma_f64 v[164:165], s[24:25], v[214:215], v[168:169]
	v_add_f64 v[166:167], v[102:103], v[166:167]
	v_mul_f64 v[186:187], v[0:1], s[22:23]
	v_fmac_f64_e32 v[22:23], s[20:21], v[226:227]
	v_mul_f64 v[20:21], v[220:221], s[52:53]
	v_fma_f64 v[26:27], s[20:21], v[210:211], v[24:25]
	v_add_f64 v[164:165], v[164:165], v[166:167]
	v_mul_f64 v[182:183], v[194:195], s[58:59]
	v_fma_f64 v[188:189], v[238:239], s[14:15], -v[186:187]
	v_add_f64 v[2:3], v[22:23], v[2:3]
	v_mul_f64 v[16:17], v[216:217], s[36:37]
	v_fma_f64 v[22:23], s[16:17], v[206:207], v[20:21]
	v_add_f64 v[26:27], v[26:27], v[164:165]
	v_mul_f64 v[178:179], v[254:255], s[46:47]
	v_fma_f64 v[184:185], v[236:237], s[24:25], -v[182:183]
	v_add_f64 v[188:189], v[100:101], v[188:189]
	v_fmac_f64_e32 v[14:15], s[30:31], v[224:225]
	v_mul_f64 v[12:13], v[212:213], s[50:51]
	v_fma_f64 v[18:19], s[30:31], v[202:203], v[16:17]
	v_add_f64 v[22:23], v[22:23], v[26:27]
	v_mul_f64 v[174:175], v[252:253], s[52:53]
	v_fma_f64 v[180:181], v[234:235], s[20:21], -v[178:179]
	v_add_f64 v[184:185], v[184:185], v[188:189]
	v_fmac_f64_e32 v[4:5], s[16:17], v[222:223]
	v_add_f64 v[2:3], v[14:15], v[2:3]
	v_mul_f64 v[6:7], v[208:209], s[42:43]
	v_fma_f64 v[14:15], s[10:11], v[200:201], v[12:13]
	v_add_f64 v[18:19], v[18:19], v[22:23]
	v_mul_f64 v[172:173], v[250:251], s[36:37]
	v_fma_f64 v[176:177], v[230:231], s[16:17], -v[174:175]
	v_add_f64 v[180:181], v[180:181], v[184:185]
	v_add_f64 v[160:161], v[4:5], v[2:3]
	v_mul_f64 v[2:3], v[204:205], s[28:29]
	v_fma_f64 v[10:11], s[26:27], v[198:199], v[6:7]
	v_add_f64 v[14:15], v[14:15], v[18:19]
	v_mul_f64 v[22:23], v[248:249], s[50:51]
	v_fma_f64 v[164:165], v[228:229], s[30:31], -v[172:173]
	v_add_f64 v[176:177], v[176:177], v[180:181]
	v_fma_f64 v[4:5], s[18:19], v[196:197], v[2:3]
	v_add_f64 v[10:11], v[10:11], v[14:15]
	v_mul_f64 v[14:15], v[246:247], s[42:43]
	v_fma_f64 v[26:27], v[226:227], s[10:11], -v[22:23]
	v_add_f64 v[164:165], v[164:165], v[176:177]
	v_add_f64 v[166:167], v[4:5], v[10:11]
	v_mul_f64 v[4:5], v[244:245], s[28:29]
	v_fma_f64 v[18:19], v[224:225], s[26:27], -v[14:15]
	v_add_f64 v[26:27], v[26:27], v[164:165]
	v_fma_f64 v[10:11], v[222:223], s[18:19], -v[4:5]
	v_add_f64 v[18:19], v[18:19], v[26:27]
	v_add_f64 v[164:165], v[10:11], v[18:19]
	v_fma_f64 v[18:19], v[210:211], s[20:21], -v[24:25]
	v_fma_f64 v[24:25], v[218:219], s[14:15], -v[170:171]
	;; [unrolled: 1-line block ×6, first 2 shown]
	v_add_f64 v[24:25], v[102:103], v[24:25]
	v_add_f64 v[20:21], v[20:21], v[24:25]
	;; [unrolled: 1-line block ×5, first 2 shown]
	v_fma_f64 v[6:7], v[198:199], s[26:27], -v[6:7]
	v_add_f64 v[10:11], v[10:11], v[12:13]
	v_fma_f64 v[2:3], v[196:197], s[18:19], -v[2:3]
	v_add_f64 v[6:7], v[6:7], v[10:11]
	v_fmac_f64_e32 v[186:187], s[14:15], v[238:239]
	v_add_f64 v[170:171], v[2:3], v[6:7]
	v_fmac_f64_e32 v[182:183], s[24:25], v[236:237]
	;; [unrolled: 2-line block ×4, first 2 shown]
	v_add_f64 v[2:3], v[178:179], v[2:3]
	v_mul_f64 v[178:179], v[242:243], s[44:45]
	v_fmac_f64_e32 v[172:173], s[30:31], v[228:229]
	v_add_f64 v[2:3], v[174:175], v[2:3]
	v_mul_f64 v[176:177], v[240:241], s[36:37]
	v_fma_f64 v[174:175], s[10:11], v[218:219], v[178:179]
	v_accvgpr_write_b32 a2, v30
	v_accvgpr_write_b32 a50, v140
	v_add_f64 v[2:3], v[172:173], v[2:3]
	v_mul_f64 v[24:25], v[232:233], s[54:55]
	v_fma_f64 v[172:173], s[30:31], v[214:215], v[176:177]
	v_add_f64 v[174:175], v[102:103], v[174:175]
	v_accvgpr_write_b32 a3, v31
	v_accvgpr_write_b32 a4, v32
	;; [unrolled: 1-line block ×3, first 2 shown]
	v_mul_f64 v[30:31], v[0:1], s[44:45]
	v_accvgpr_write_b32 a51, v141
	v_accvgpr_write_b32 a52, v142
	v_accvgpr_write_b32 a53, v143
	v_fmac_f64_e32 v[22:23], s[10:11], v[226:227]
	v_mul_f64 v[20:21], v[220:221], s[40:41]
	v_fma_f64 v[26:27], s[14:15], v[210:211], v[24:25]
	v_add_f64 v[172:173], v[172:173], v[174:175]
	v_mul_f64 v[190:191], v[194:195], s[36:37]
	v_fma_f64 v[140:141], v[238:239], s[10:11], -v[30:31]
	v_add_f64 v[2:3], v[22:23], v[2:3]
	v_mul_f64 v[16:17], v[216:217], s[52:53]
	v_fma_f64 v[22:23], s[26:27], v[206:207], v[20:21]
	v_add_f64 v[26:27], v[26:27], v[172:173]
	v_mul_f64 v[186:187], v[254:255], s[54:55]
	v_fma_f64 v[28:29], v[236:237], s[30:31], -v[190:191]
	v_add_f64 v[140:141], v[100:101], v[140:141]
	v_fmac_f64_e32 v[14:15], s[26:27], v[224:225]
	v_mul_f64 v[12:13], v[212:213], s[34:35]
	v_fma_f64 v[18:19], s[16:17], v[202:203], v[16:17]
	v_add_f64 v[22:23], v[22:23], v[26:27]
	v_mul_f64 v[182:183], v[252:253], s[40:41]
	v_fma_f64 v[188:189], v[234:235], s[14:15], -v[186:187]
	v_add_f64 v[28:29], v[28:29], v[140:141]
	v_fmac_f64_e32 v[4:5], s[18:19], v[222:223]
	v_add_f64 v[2:3], v[14:15], v[2:3]
	v_mul_f64 v[6:7], v[208:209], s[56:57]
	v_fma_f64 v[14:15], s[24:25], v[200:201], v[12:13]
	v_add_f64 v[18:19], v[18:19], v[22:23]
	v_mul_f64 v[180:181], v[250:251], s[52:53]
	v_fma_f64 v[184:185], v[230:231], s[26:27], -v[182:183]
	v_add_f64 v[28:29], v[188:189], v[28:29]
	v_add_f64 v[168:169], v[4:5], v[2:3]
	v_mul_f64 v[2:3], v[204:205], s[46:47]
	v_fma_f64 v[10:11], s[18:19], v[198:199], v[6:7]
	v_add_f64 v[14:15], v[14:15], v[18:19]
	v_mul_f64 v[22:23], v[248:249], s[34:35]
	v_fma_f64 v[172:173], v[228:229], s[16:17], -v[180:181]
	v_add_f64 v[28:29], v[184:185], v[28:29]
	v_fma_f64 v[4:5], s[20:21], v[196:197], v[2:3]
	v_add_f64 v[10:11], v[10:11], v[14:15]
	v_mul_f64 v[14:15], v[246:247], s[56:57]
	v_fma_f64 v[26:27], v[226:227], s[24:25], -v[22:23]
	v_add_f64 v[28:29], v[172:173], v[28:29]
	v_add_f64 v[174:175], v[4:5], v[10:11]
	v_mul_f64 v[4:5], v[244:245], s[46:47]
	v_fma_f64 v[18:19], v[224:225], s[18:19], -v[14:15]
	v_add_f64 v[26:27], v[26:27], v[28:29]
	v_fma_f64 v[10:11], v[222:223], s[20:21], -v[4:5]
	v_add_f64 v[18:19], v[18:19], v[26:27]
	v_add_f64 v[172:173], v[10:11], v[18:19]
	v_fma_f64 v[18:19], v[210:211], s[14:15], -v[24:25]
	v_fma_f64 v[24:25], v[218:219], s[10:11], -v[178:179]
	;; [unrolled: 1-line block ×6, first 2 shown]
	v_add_f64 v[24:25], v[102:103], v[24:25]
	v_add_f64 v[20:21], v[20:21], v[24:25]
	v_add_f64 v[18:19], v[18:19], v[20:21]
	v_add_f64 v[16:17], v[16:17], v[18:19]
	v_add_f64 v[12:13], v[12:13], v[16:17]
	v_fma_f64 v[6:7], v[198:199], s[18:19], -v[6:7]
	v_add_f64 v[10:11], v[10:11], v[12:13]
	v_fma_f64 v[2:3], v[196:197], s[20:21], -v[2:3]
	v_add_f64 v[6:7], v[6:7], v[10:11]
	v_fmac_f64_e32 v[30:31], s[10:11], v[238:239]
	v_add_f64 v[178:179], v[2:3], v[6:7]
	v_fmac_f64_e32 v[190:191], s[30:31], v[236:237]
	;; [unrolled: 2-line block ×3, first 2 shown]
	v_add_f64 v[2:3], v[190:191], v[2:3]
	v_mul_f64 v[140:141], v[242:243], s[52:53]
	v_fmac_f64_e32 v[182:183], s[26:27], v[230:231]
	v_add_f64 v[2:3], v[186:187], v[2:3]
	s_mov_b32 s51, 0x3fc7851a
	s_mov_b32 s50, s36
	v_mul_f64 v[28:29], v[240:241], s[28:29]
	v_fma_f64 v[142:143], s[16:17], v[218:219], v[140:141]
	v_accvgpr_write_b32 a6, v34
	v_fmac_f64_e32 v[180:181], s[16:17], v[228:229]
	v_add_f64 v[2:3], v[182:183], v[2:3]
	v_mul_f64 v[24:25], v[232:233], s[50:51]
	v_fma_f64 v[30:31], s[18:19], v[214:215], v[28:29]
	v_add_f64 v[142:143], v[102:103], v[142:143]
	v_accvgpr_write_b32 a7, v35
	v_accvgpr_write_b32 a8, v36
	;; [unrolled: 1-line block ×3, first 2 shown]
	v_mul_f64 v[36:37], v[0:1], s[52:53]
	v_accvgpr_write_b32 a10, v38
	v_fmac_f64_e32 v[22:23], s[24:25], v[226:227]
	v_add_f64 v[2:3], v[180:181], v[2:3]
	v_mul_f64 v[20:21], v[220:221], s[54:55]
	v_fma_f64 v[26:27], s[30:31], v[210:211], v[24:25]
	v_add_f64 v[30:31], v[30:31], v[142:143]
	v_mul_f64 v[32:33], v[194:195], s[28:29]
	v_accvgpr_write_b32 a11, v39
	v_accvgpr_write_b32 a12, v40
	;; [unrolled: 1-line block ×3, first 2 shown]
	v_fma_f64 v[38:39], v[238:239], s[16:17], -v[36:37]
	v_add_f64 v[2:3], v[22:23], v[2:3]
	v_mul_f64 v[16:17], v[216:217], s[46:47]
	v_fma_f64 v[22:23], s[14:15], v[206:207], v[20:21]
	v_add_f64 v[26:27], v[26:27], v[30:31]
	v_mul_f64 v[186:187], v[254:255], s[50:51]
	v_fma_f64 v[34:35], v[236:237], s[18:19], -v[32:33]
	v_add_f64 v[38:39], v[100:101], v[38:39]
	v_fmac_f64_e32 v[14:15], s[18:19], v[224:225]
	v_mul_f64 v[12:13], v[212:213], s[42:43]
	v_fma_f64 v[18:19], s[20:21], v[202:203], v[16:17]
	v_add_f64 v[22:23], v[22:23], v[26:27]
	v_mul_f64 v[184:185], v[252:253], s[54:55]
	v_fma_f64 v[188:189], v[234:235], s[30:31], -v[186:187]
	v_add_f64 v[34:35], v[34:35], v[38:39]
	v_fmac_f64_e32 v[4:5], s[20:21], v[222:223]
	v_add_f64 v[2:3], v[14:15], v[2:3]
	v_mul_f64 v[6:7], v[208:209], s[44:45]
	v_fma_f64 v[14:15], s[26:27], v[200:201], v[12:13]
	v_add_f64 v[18:19], v[18:19], v[22:23]
	v_mul_f64 v[30:31], v[250:251], s[46:47]
	v_fma_f64 v[180:181], v[230:231], s[14:15], -v[184:185]
	v_add_f64 v[34:35], v[188:189], v[34:35]
	v_add_f64 v[176:177], v[4:5], v[2:3]
	v_mul_f64 v[2:3], v[204:205], s[34:35]
	v_fma_f64 v[10:11], s[10:11], v[198:199], v[6:7]
	v_add_f64 v[14:15], v[14:15], v[18:19]
	v_mul_f64 v[22:23], v[248:249], s[42:43]
	v_fma_f64 v[142:143], v[228:229], s[20:21], -v[30:31]
	v_add_f64 v[34:35], v[180:181], v[34:35]
	v_fma_f64 v[4:5], s[24:25], v[196:197], v[2:3]
	v_add_f64 v[10:11], v[10:11], v[14:15]
	v_mul_f64 v[14:15], v[246:247], s[44:45]
	v_fma_f64 v[26:27], v[226:227], s[26:27], -v[22:23]
	v_add_f64 v[34:35], v[142:143], v[34:35]
	v_add_f64 v[182:183], v[4:5], v[10:11]
	v_mul_f64 v[4:5], v[244:245], s[34:35]
	v_fma_f64 v[18:19], v[224:225], s[10:11], -v[14:15]
	v_add_f64 v[26:27], v[26:27], v[34:35]
	v_fma_f64 v[10:11], v[222:223], s[24:25], -v[4:5]
	v_add_f64 v[18:19], v[18:19], v[26:27]
	v_add_f64 v[180:181], v[10:11], v[18:19]
	v_fma_f64 v[18:19], v[210:211], s[30:31], -v[24:25]
	v_fma_f64 v[24:25], v[218:219], s[16:17], -v[140:141]
	;; [unrolled: 1-line block ×6, first 2 shown]
	v_add_f64 v[24:25], v[102:103], v[24:25]
	v_add_f64 v[20:21], v[20:21], v[24:25]
	;; [unrolled: 1-line block ×5, first 2 shown]
	v_fma_f64 v[6:7], v[198:199], s[10:11], -v[6:7]
	v_add_f64 v[10:11], v[10:11], v[12:13]
	v_fma_f64 v[2:3], v[196:197], s[24:25], -v[2:3]
	v_add_f64 v[6:7], v[6:7], v[10:11]
	v_fmac_f64_e32 v[36:37], s[16:17], v[238:239]
	v_add_f64 v[190:191], v[2:3], v[6:7]
	v_fmac_f64_e32 v[32:33], s[18:19], v[236:237]
	;; [unrolled: 2-line block ×4, first 2 shown]
	v_add_f64 v[2:3], v[186:187], v[2:3]
	v_mul_f64 v[32:33], v[242:243], s[48:49]
	v_fmac_f64_e32 v[30:31], s[20:21], v[228:229]
	v_add_f64 v[2:3], v[184:185], v[2:3]
	v_mul_f64 v[28:29], v[240:241], s[44:45]
	v_fma_f64 v[34:35], s[20:21], v[218:219], v[32:33]
	v_accvgpr_write_b32 a14, v42
	v_add_f64 v[2:3], v[30:31], v[2:3]
	v_mul_f64 v[24:25], v[232:233], s[28:29]
	v_fma_f64 v[30:31], s[10:11], v[214:215], v[28:29]
	v_add_f64 v[34:35], v[102:103], v[34:35]
	v_accvgpr_write_b32 a15, v43
	v_accvgpr_write_b32 a16, v44
	v_accvgpr_write_b32 a17, v45
	v_mul_f64 v[44:45], v[0:1], s[48:49]
	v_fmac_f64_e32 v[22:23], s[26:27], v[226:227]
	v_mul_f64 v[20:21], v[220:221], s[36:37]
	v_fma_f64 v[26:27], s[18:19], v[210:211], v[24:25]
	v_add_f64 v[30:31], v[30:31], v[34:35]
	v_mul_f64 v[40:41], v[194:195], s[44:45]
	v_fma_f64 v[46:47], v[238:239], s[20:21], -v[44:45]
	v_add_f64 v[2:3], v[22:23], v[2:3]
	v_mul_f64 v[16:17], v[216:217], s[58:59]
	v_fma_f64 v[22:23], s[30:31], v[206:207], v[20:21]
	v_add_f64 v[26:27], v[26:27], v[30:31]
	v_mul_f64 v[140:141], v[254:255], s[28:29]
	v_fma_f64 v[42:43], v[236:237], s[10:11], -v[40:41]
	v_add_f64 v[46:47], v[100:101], v[46:47]
	v_fmac_f64_e32 v[14:15], s[10:11], v[224:225]
	v_mul_f64 v[12:13], v[212:213], s[54:55]
	v_fma_f64 v[18:19], s[24:25], v[202:203], v[16:17]
	v_add_f64 v[22:23], v[22:23], v[26:27]
	v_mul_f64 v[36:37], v[252:253], s[36:37]
	v_fma_f64 v[142:143], v[234:235], s[18:19], -v[140:141]
	v_add_f64 v[42:43], v[42:43], v[46:47]
	v_fmac_f64_e32 v[4:5], s[24:25], v[222:223]
	v_add_f64 v[2:3], v[14:15], v[2:3]
	v_mul_f64 v[6:7], v[208:209], s[38:39]
	v_fma_f64 v[14:15], s[14:15], v[200:201], v[12:13]
	v_add_f64 v[18:19], v[18:19], v[22:23]
	v_mul_f64 v[30:31], v[250:251], s[58:59]
	v_fma_f64 v[38:39], v[230:231], s[30:31], -v[36:37]
	v_add_f64 v[42:43], v[142:143], v[42:43]
	v_add_f64 v[188:189], v[4:5], v[2:3]
	v_mul_f64 v[2:3], v[204:205], s[40:41]
	v_fma_f64 v[10:11], s[16:17], v[198:199], v[6:7]
	v_add_f64 v[14:15], v[14:15], v[18:19]
	v_mul_f64 v[22:23], v[248:249], s[54:55]
	v_fma_f64 v[34:35], v[228:229], s[24:25], -v[30:31]
	v_add_f64 v[38:39], v[38:39], v[42:43]
	v_fma_f64 v[4:5], s[26:27], v[196:197], v[2:3]
	v_add_f64 v[10:11], v[10:11], v[14:15]
	v_mul_f64 v[14:15], v[246:247], s[38:39]
	v_fma_f64 v[26:27], v[226:227], s[14:15], -v[22:23]
	v_add_f64 v[34:35], v[34:35], v[38:39]
	v_add_f64 v[186:187], v[4:5], v[10:11]
	v_mul_f64 v[10:11], v[244:245], s[40:41]
	v_fma_f64 v[18:19], v[224:225], s[16:17], -v[14:15]
	v_add_f64 v[26:27], v[26:27], v[34:35]
	v_fma_f64 v[4:5], v[222:223], s[26:27], -v[10:11]
	v_add_f64 v[18:19], v[18:19], v[26:27]
	v_add_f64 v[184:185], v[4:5], v[18:19]
	v_fma_f64 v[18:19], v[210:211], s[18:19], -v[24:25]
	v_fma_f64 v[24:25], v[218:219], s[20:21], -v[32:33]
	v_fma_f64 v[4:5], v[198:199], s[16:17], -v[6:7]
	v_fma_f64 v[6:7], v[200:201], s[14:15], -v[12:13]
	v_fma_f64 v[12:13], v[202:203], s[24:25], -v[16:17]
	v_fma_f64 v[16:17], v[206:207], s[30:31], -v[20:21]
	v_fma_f64 v[20:21], v[214:215], s[10:11], -v[28:29]
	v_add_f64 v[24:25], v[102:103], v[24:25]
	v_add_f64 v[20:21], v[20:21], v[24:25]
	;; [unrolled: 1-line block ×6, first 2 shown]
	v_fma_f64 v[2:3], v[196:197], s[26:27], -v[2:3]
	v_add_f64 v[4:5], v[4:5], v[6:7]
	v_fmac_f64_e32 v[44:45], s[20:21], v[238:239]
	v_add_f64 v[4:5], v[2:3], v[4:5]
	v_fmac_f64_e32 v[40:41], s[10:11], v[236:237]
	;; [unrolled: 2-line block ×4, first 2 shown]
	v_add_f64 v[2:3], v[140:141], v[2:3]
	v_add_f64 v[2:3], v[36:37], v[2:3]
	v_mul_f64 v[36:37], v[242:243], s[42:43]
	v_mul_f64 v[32:33], v[240:241], s[48:49]
	v_fma_f64 v[38:39], s[26:27], v[218:219], v[36:37]
	v_mul_f64 v[0:1], v[0:1], s[42:43]
	v_fmac_f64_e32 v[30:31], s[24:25], v[228:229]
	v_mul_f64 v[6:7], v[204:205], s[36:37]
	v_mul_f64 v[28:29], v[232:233], s[52:53]
	v_fma_f64 v[34:35], s[20:21], v[214:215], v[32:33]
	v_add_f64 v[38:39], v[102:103], v[38:39]
	v_mul_f64 v[142:143], v[194:195], s[48:49]
	v_fma_f64 v[204:205], v[238:239], s[26:27], -v[0:1]
	v_add_f64 v[2:3], v[30:31], v[2:3]
	v_mul_f64 v[24:25], v[220:221], s[44:45]
	v_fma_f64 v[30:31], s[16:17], v[210:211], v[28:29]
	v_add_f64 v[34:35], v[34:35], v[38:39]
	v_mul_f64 v[46:47], v[254:255], s[52:53]
	v_fma_f64 v[194:195], v[236:237], s[20:21], -v[142:143]
	v_add_f64 v[204:205], v[100:101], v[204:205]
	v_fmac_f64_e32 v[22:23], s[14:15], v[226:227]
	v_mul_f64 v[20:21], v[216:217], s[22:23]
	v_fma_f64 v[26:27], s[10:11], v[206:207], v[24:25]
	v_add_f64 v[30:31], v[30:31], v[34:35]
	v_mul_f64 v[42:43], v[252:253], s[44:45]
	v_fma_f64 v[140:141], v[234:235], s[16:17], -v[46:47]
	v_add_f64 v[194:195], v[194:195], v[204:205]
	v_fmac_f64_e32 v[14:15], s[16:17], v[224:225]
	v_add_f64 v[2:3], v[22:23], v[2:3]
	v_mul_f64 v[16:17], v[212:213], s[28:29]
	v_fma_f64 v[22:23], s[14:15], v[202:203], v[20:21]
	v_add_f64 v[26:27], v[26:27], v[30:31]
	v_mul_f64 v[38:39], v[250:251], s[22:23]
	v_fma_f64 v[44:45], v[230:231], s[10:11], -v[42:43]
	v_add_f64 v[140:141], v[140:141], v[194:195]
	v_add_f64 v[2:3], v[14:15], v[2:3]
	v_mul_f64 v[14:15], v[208:209], s[34:35]
	v_fma_f64 v[18:19], s[18:19], v[200:201], v[16:17]
	v_add_f64 v[22:23], v[22:23], v[26:27]
	v_mul_f64 v[30:31], v[248:249], s[28:29]
	v_fma_f64 v[40:41], v[228:229], s[14:15], -v[38:39]
	v_add_f64 v[44:45], v[44:45], v[140:141]
	v_fmac_f64_e32 v[10:11], s[26:27], v[222:223]
	v_fma_f64 v[12:13], s[24:25], v[198:199], v[14:15]
	v_add_f64 v[18:19], v[18:19], v[22:23]
	v_mul_f64 v[22:23], v[246:247], s[34:35]
	v_fma_f64 v[34:35], v[226:227], s[18:19], -v[30:31]
	v_add_f64 v[40:41], v[40:41], v[44:45]
	v_add_f64 v[2:3], v[10:11], v[2:3]
	v_fma_f64 v[10:11], s[30:31], v[196:197], v[6:7]
	v_add_f64 v[12:13], v[12:13], v[18:19]
	v_mul_f64 v[18:19], v[244:245], s[36:37]
	v_fma_f64 v[26:27], v[224:225], s[24:25], -v[22:23]
	v_add_f64 v[34:35], v[34:35], v[40:41]
	v_add_f64 v[12:13], v[10:11], v[12:13]
	v_fma_f64 v[10:11], v[222:223], s[30:31], -v[18:19]
	v_add_f64 v[26:27], v[26:27], v[34:35]
	v_add_f64 v[10:11], v[10:11], v[26:27]
	v_fma_f64 v[26:27], v[210:211], s[16:17], -v[28:29]
	v_fma_f64 v[28:29], v[214:215], s[20:21], -v[32:33]
	;; [unrolled: 1-line block ×3, first 2 shown]
	v_fmac_f64_e32 v[0:1], s[26:27], v[238:239]
	v_add_f64 v[32:33], v[102:103], v[32:33]
	v_fmac_f64_e32 v[142:143], s[20:21], v[236:237]
	v_add_f64 v[0:1], v[100:101], v[0:1]
	v_add_f64 v[28:29], v[28:29], v[32:33]
	v_fmac_f64_e32 v[46:47], s[16:17], v[234:235]
	v_add_f64 v[0:1], v[142:143], v[0:1]
	v_fma_f64 v[24:25], v[206:207], s[10:11], -v[24:25]
	v_add_f64 v[26:27], v[26:27], v[28:29]
	v_fmac_f64_e32 v[42:43], s[10:11], v[230:231]
	v_add_f64 v[0:1], v[46:47], v[0:1]
	v_fma_f64 v[20:21], v[202:203], s[14:15], -v[20:21]
	;; [unrolled: 4-line block ×5, first 2 shown]
	v_add_f64 v[14:15], v[14:15], v[16:17]
	v_fmac_f64_e32 v[18:19], s[30:31], v[222:223]
	v_add_f64 v[0:1], v[22:23], v[0:1]
	v_add_f64 v[16:17], v[6:7], v[14:15]
	v_add_f64 v[14:15], v[18:19], v[0:1]
	v_add_f64 v[0:1], v[102:103], v[106:107]
	v_add_f64 v[0:1], v[0:1], v[110:111]
	v_add_f64 v[0:1], v[0:1], v[114:115]
	v_add_f64 v[0:1], v[0:1], v[118:119]
	v_add_f64 v[0:1], v[0:1], v[122:123]
	v_add_f64 v[0:1], v[0:1], v[126:127]
	v_add_f64 v[0:1], v[0:1], v[130:131]
	v_add_f64 v[0:1], v[0:1], v[134:135]
	v_add_f64 v[0:1], v[0:1], v[138:139]
	v_add_f64 v[0:1], v[0:1], v[74:75]
	v_add_f64 v[0:1], v[0:1], v[70:71]
	v_add_f64 v[0:1], v[0:1], v[66:67]
	v_add_f64 v[0:1], v[0:1], v[62:63]
	v_add_f64 v[0:1], v[0:1], v[58:59]
	v_add_f64 v[0:1], v[0:1], v[54:55]
	v_add_f64 v[20:21], v[0:1], v[50:51]
	v_add_f64 v[0:1], v[100:101], v[104:105]
	v_add_f64 v[0:1], v[0:1], v[108:109]
	v_add_f64 v[0:1], v[0:1], v[112:113]
	v_add_f64 v[0:1], v[0:1], v[116:117]
	v_add_f64 v[0:1], v[0:1], v[120:121]
	v_add_f64 v[0:1], v[0:1], v[124:125]
	v_add_f64 v[0:1], v[0:1], v[128:129]
	v_add_f64 v[0:1], v[0:1], v[132:133]
	v_add_f64 v[0:1], v[0:1], v[136:137]
	v_add_f64 v[0:1], v[0:1], v[72:73]
	v_add_f64 v[0:1], v[0:1], v[68:69]
	v_add_f64 v[0:1], v[0:1], v[64:65]
	v_add_f64 v[0:1], v[0:1], v[60:61]
	v_add_f64 v[0:1], v[0:1], v[56:57]
	v_add_f64 v[0:1], v[0:1], v[52:53]
	v_accvgpr_read_b32 v37, a9
	v_accvgpr_read_b32 v223, a37
	;; [unrolled: 1-line block ×11, first 2 shown]
	v_add_f64 v[18:19], v[0:1], v[48:49]
	v_accvgpr_read_b32 v49, a21
	v_accvgpr_read_b32 v0, a1
	;; [unrolled: 1-line block ×39, first 2 shown]
	v_lshlrev_b32_e32 v0, 4, v0
	ds_write_b128 v0, v[18:21]
	ds_write_b128 v0, v[14:17] offset:16
	ds_write_b128 v0, v[2:5] offset:32
	;; [unrolled: 1-line block ×16, first 2 shown]
.LBB0_13:
	s_or_b64 exec, exec, s[0:1]
	s_waitcnt lgkmcnt(0)
	s_barrier
	ds_read_b128 v[0:3], v192
	ds_read_b128 v[10:13], v192 offset:2720
	ds_read_b128 v[14:17], v192 offset:5440
	;; [unrolled: 1-line block ×9, first 2 shown]
	s_waitcnt lgkmcnt(8)
	v_mul_f64 v[4:5], v[44:45], v[12:13]
	v_fmac_f64_e32 v[4:5], v[42:43], v[10:11]
	v_mul_f64 v[6:7], v[44:45], v[10:11]
	s_waitcnt lgkmcnt(7)
	v_mul_f64 v[10:11], v[40:41], v[16:17]
	v_fma_f64 v[6:7], v[42:43], v[12:13], -v[6:7]
	v_fmac_f64_e32 v[10:11], v[38:39], v[14:15]
	v_mul_f64 v[12:13], v[40:41], v[14:15]
	s_waitcnt lgkmcnt(6)
	v_mul_f64 v[14:15], v[36:37], v[20:21]
	v_fma_f64 v[12:13], v[38:39], v[16:17], -v[12:13]
	v_fmac_f64_e32 v[14:15], v[34:35], v[18:19]
	v_mul_f64 v[16:17], v[36:37], v[18:19]
	s_waitcnt lgkmcnt(5)
	v_mul_f64 v[18:19], v[32:33], v[24:25]
	s_waitcnt lgkmcnt(3)
	v_mul_f64 v[26:27], v[56:57], v[106:107]
	v_fmac_f64_e32 v[18:19], v[30:31], v[22:23]
	v_fmac_f64_e32 v[26:27], v[54:55], v[104:105]
	s_waitcnt lgkmcnt(1)
	v_mul_f64 v[36:37], v[48:49], v[112:113]
	v_fma_f64 v[16:17], v[34:35], v[20:21], -v[16:17]
	v_mul_f64 v[20:21], v[32:33], v[22:23]
	v_mul_f64 v[28:29], v[56:57], v[104:105]
	v_mul_f64 v[34:35], v[48:49], v[114:115]
	v_fma_f64 v[36:37], v[46:47], v[114:115], -v[36:37]
	v_add_f64 v[44:45], v[18:19], v[26:27]
	s_mov_b32 s16, 0x134454ff
	v_fma_f64 v[20:21], v[30:31], v[24:25], -v[20:21]
	v_fma_f64 v[28:29], v[54:55], v[106:107], -v[28:29]
	v_mul_f64 v[30:31], v[52:53], v[110:111]
	v_mul_f64 v[32:33], v[52:53], v[108:109]
	v_fmac_f64_e32 v[34:35], v[46:47], v[112:113]
	v_fma_f64 v[44:45], -0.5, v[44:45], v[0:1]
	v_add_f64 v[46:47], v[12:13], -v[36:37]
	s_mov_b32 s17, 0xbfee6f0e
	s_mov_b32 s18, 0x4755a5e
	;; [unrolled: 1-line block ×4, first 2 shown]
	v_fmac_f64_e32 v[30:31], v[50:51], v[108:109]
	v_fma_f64 v[32:33], v[50:51], v[110:111], -v[32:33]
	v_fma_f64 v[48:49], s[16:17], v[46:47], v[44:45]
	v_add_f64 v[50:51], v[20:21], -v[28:29]
	s_mov_b32 s19, 0xbfe2cf23
	v_add_f64 v[52:53], v[10:11], -v[18:19]
	v_add_f64 v[54:55], v[34:35], -v[26:27]
	s_mov_b32 s14, 0x372fe950
	v_fmac_f64_e32 v[44:45], s[10:11], v[46:47]
	s_mov_b32 s1, 0x3fe2cf23
	s_mov_b32 s0, s18
	v_fmac_f64_e32 v[48:49], s[18:19], v[50:51]
	v_add_f64 v[52:53], v[52:53], v[54:55]
	s_mov_b32 s15, 0x3fd3c6ef
	v_fmac_f64_e32 v[44:45], s[0:1], v[50:51]
	v_fmac_f64_e32 v[48:49], s[14:15], v[52:53]
	;; [unrolled: 1-line block ×3, first 2 shown]
	v_add_f64 v[52:53], v[10:11], v[34:35]
	v_add_f64 v[42:43], v[0:1], v[10:11]
	v_fmac_f64_e32 v[0:1], -0.5, v[52:53]
	v_add_f64 v[42:43], v[42:43], v[18:19]
	v_fma_f64 v[52:53], s[10:11], v[50:51], v[0:1]
	v_add_f64 v[54:55], v[18:19], -v[10:11]
	v_add_f64 v[56:57], v[26:27], -v[34:35]
	v_fmac_f64_e32 v[0:1], s[16:17], v[50:51]
	v_add_f64 v[50:51], v[20:21], v[28:29]
	v_add_f64 v[42:43], v[42:43], v[26:27]
	v_fmac_f64_e32 v[52:53], s[18:19], v[46:47]
	v_add_f64 v[54:55], v[54:55], v[56:57]
	v_fmac_f64_e32 v[0:1], s[0:1], v[46:47]
	v_fma_f64 v[50:51], -0.5, v[50:51], v[2:3]
	v_add_f64 v[10:11], v[10:11], -v[34:35]
	v_add_f64 v[42:43], v[42:43], v[34:35]
	v_fmac_f64_e32 v[52:53], s[14:15], v[54:55]
	v_fmac_f64_e32 v[0:1], s[14:15], v[54:55]
	v_fma_f64 v[54:55], s[10:11], v[10:11], v[50:51]
	v_add_f64 v[18:19], v[18:19], -v[26:27]
	v_add_f64 v[26:27], v[12:13], -v[20:21]
	;; [unrolled: 1-line block ×3, first 2 shown]
	v_fmac_f64_e32 v[50:51], s[16:17], v[10:11]
	v_fmac_f64_e32 v[54:55], s[0:1], v[18:19]
	v_add_f64 v[26:27], v[26:27], v[34:35]
	v_fmac_f64_e32 v[50:51], s[18:19], v[18:19]
	v_fmac_f64_e32 v[54:55], s[14:15], v[26:27]
	v_fmac_f64_e32 v[50:51], s[14:15], v[26:27]
	v_add_f64 v[26:27], v[12:13], v[36:37]
	v_add_f64 v[46:47], v[2:3], v[12:13]
	v_fmac_f64_e32 v[2:3], -0.5, v[26:27]
	v_mul_f64 v[22:23], v[60:61], v[102:103]
	v_fma_f64 v[56:57], s[16:17], v[18:19], v[2:3]
	v_fmac_f64_e32 v[2:3], s[10:11], v[18:19]
	v_fmac_f64_e32 v[22:23], v[58:59], v[100:101]
	;; [unrolled: 1-line block ×4, first 2 shown]
	v_add_f64 v[10:11], v[4:5], v[14:15]
	s_waitcnt lgkmcnt(0)
	v_mul_f64 v[38:39], v[222:223], v[118:119]
	v_add_f64 v[10:11], v[10:11], v[22:23]
	v_fmac_f64_e32 v[38:39], v[220:221], v[116:117]
	v_mul_f64 v[40:41], v[222:223], v[116:117]
	v_add_f64 v[10:11], v[10:11], v[30:31]
	v_mul_f64 v[24:25], v[60:61], v[100:101]
	v_fma_f64 v[40:41], v[220:221], v[118:119], -v[40:41]
	v_add_f64 v[46:47], v[46:47], v[20:21]
	v_add_f64 v[12:13], v[20:21], -v[12:13]
	v_add_f64 v[20:21], v[28:29], -v[36:37]
	v_add_f64 v[34:35], v[10:11], v[38:39]
	v_add_f64 v[10:11], v[22:23], v[30:31]
	v_fma_f64 v[24:25], v[58:59], v[102:103], -v[24:25]
	v_add_f64 v[46:47], v[46:47], v[28:29]
	v_add_f64 v[12:13], v[12:13], v[20:21]
	v_fma_f64 v[28:29], -0.5, v[10:11], v[4:5]
	v_add_f64 v[10:11], v[16:17], -v[40:41]
	v_fmac_f64_e32 v[56:57], s[14:15], v[12:13]
	v_fmac_f64_e32 v[2:3], s[14:15], v[12:13]
	v_fma_f64 v[20:21], s[16:17], v[10:11], v[28:29]
	v_add_f64 v[12:13], v[24:25], -v[32:33]
	v_add_f64 v[18:19], v[14:15], -v[22:23]
	;; [unrolled: 1-line block ×3, first 2 shown]
	v_fmac_f64_e32 v[28:29], s[10:11], v[10:11]
	v_fmac_f64_e32 v[20:21], s[18:19], v[12:13]
	v_add_f64 v[18:19], v[18:19], v[26:27]
	v_fmac_f64_e32 v[28:29], s[0:1], v[12:13]
	v_fmac_f64_e32 v[20:21], s[14:15], v[18:19]
	;; [unrolled: 1-line block ×3, first 2 shown]
	v_add_f64 v[18:19], v[14:15], v[38:39]
	v_fmac_f64_e32 v[4:5], -0.5, v[18:19]
	v_add_f64 v[46:47], v[46:47], v[36:37]
	v_fma_f64 v[36:37], s[10:11], v[12:13], v[4:5]
	v_fmac_f64_e32 v[4:5], s[16:17], v[12:13]
	v_fmac_f64_e32 v[36:37], s[18:19], v[10:11]
	;; [unrolled: 1-line block ×3, first 2 shown]
	v_add_f64 v[10:11], v[6:7], v[16:17]
	v_add_f64 v[10:11], v[10:11], v[24:25]
	;; [unrolled: 1-line block ×3, first 2 shown]
	v_add_f64 v[18:19], v[22:23], -v[14:15]
	v_add_f64 v[26:27], v[30:31], -v[38:39]
	v_add_f64 v[58:59], v[10:11], v[40:41]
	v_add_f64 v[10:11], v[24:25], v[32:33]
	v_add_f64 v[18:19], v[18:19], v[26:27]
	v_fma_f64 v[60:61], -0.5, v[10:11], v[6:7]
	v_add_f64 v[10:11], v[14:15], -v[38:39]
	v_fmac_f64_e32 v[36:37], s[14:15], v[18:19]
	v_fmac_f64_e32 v[4:5], s[14:15], v[18:19]
	v_fma_f64 v[38:39], s[10:11], v[10:11], v[60:61]
	v_add_f64 v[12:13], v[22:23], -v[30:31]
	v_add_f64 v[14:15], v[16:17], -v[24:25]
	;; [unrolled: 1-line block ×3, first 2 shown]
	v_fmac_f64_e32 v[60:61], s[16:17], v[10:11]
	v_fmac_f64_e32 v[38:39], s[0:1], v[12:13]
	v_add_f64 v[14:15], v[14:15], v[18:19]
	v_fmac_f64_e32 v[60:61], s[18:19], v[12:13]
	v_fmac_f64_e32 v[38:39], s[14:15], v[14:15]
	;; [unrolled: 1-line block ×3, first 2 shown]
	v_add_f64 v[14:15], v[16:17], v[40:41]
	v_fmac_f64_e32 v[6:7], -0.5, v[14:15]
	v_fma_f64 v[30:31], s[16:17], v[12:13], v[6:7]
	v_add_f64 v[14:15], v[24:25], -v[16:17]
	v_add_f64 v[16:17], v[32:33], -v[40:41]
	v_fmac_f64_e32 v[6:7], s[10:11], v[12:13]
	v_fmac_f64_e32 v[30:31], s[0:1], v[10:11]
	v_add_f64 v[14:15], v[14:15], v[16:17]
	v_fmac_f64_e32 v[6:7], s[18:19], v[10:11]
	s_mov_b32 s20, 0x9b97f4a8
	v_fmac_f64_e32 v[30:31], s[14:15], v[14:15]
	v_fmac_f64_e32 v[6:7], s[14:15], v[14:15]
	s_mov_b32 s21, 0x3fe9e377
	s_mov_b32 s23, 0xbfd3c6ef
	;; [unrolled: 1-line block ×5, first 2 shown]
	v_mul_f64 v[32:33], v[38:39], s[18:19]
	v_mul_f64 v[40:41], v[30:31], s[16:17]
	;; [unrolled: 1-line block ×8, first 2 shown]
	v_fmac_f64_e32 v[32:33], s[20:21], v[20:21]
	v_fmac_f64_e32 v[40:41], s[14:15], v[36:37]
	;; [unrolled: 1-line block ×8, first 2 shown]
	v_add_f64 v[10:11], v[42:43], v[34:35]
	v_add_f64 v[14:15], v[48:49], v[32:33]
	v_add_f64 v[18:19], v[52:53], v[40:41]
	v_add_f64 v[22:23], v[0:1], v[62:63]
	v_add_f64 v[26:27], v[44:45], v[100:101]
	v_add_f64 v[12:13], v[46:47], v[58:59]
	v_add_f64 v[16:17], v[54:55], v[102:103]
	v_add_f64 v[20:21], v[56:57], v[104:105]
	v_add_f64 v[24:25], v[2:3], v[106:107]
	v_add_f64 v[28:29], v[50:51], v[60:61]
	v_add_f64 v[4:5], v[42:43], -v[34:35]
	v_add_f64 v[30:31], v[48:49], -v[32:33]
	;; [unrolled: 1-line block ×10, first 2 shown]
	s_barrier
	ds_write_b128 v8, v[10:13]
	ds_write_b128 v8, v[14:17] offset:272
	ds_write_b128 v8, v[18:21] offset:544
	ds_write_b128 v8, v[22:25] offset:816
	ds_write_b128 v8, v[26:29] offset:1088
	ds_write_b128 v8, v[4:7] offset:1360
	ds_write_b128 v8, v[30:33] offset:1632
	ds_write_b128 v8, v[34:37] offset:1904
	ds_write_b128 v8, v[0:3] offset:2176
	ds_write_b128 v8, v[38:41] offset:2448
	s_waitcnt lgkmcnt(0)
	s_barrier
	ds_read_b128 v[0:3], v192
	ds_read_b128 v[4:7], v192 offset:2720
	ds_read_b128 v[8:11], v192 offset:5440
	;; [unrolled: 1-line block ×9, first 2 shown]
	s_waitcnt lgkmcnt(8)
	v_mul_f64 v[40:41], v[78:79], v[6:7]
	v_fmac_f64_e32 v[40:41], v[76:77], v[4:5]
	v_mul_f64 v[4:5], v[78:79], v[4:5]
	v_fma_f64 v[42:43], v[76:77], v[6:7], -v[4:5]
	s_waitcnt lgkmcnt(7)
	v_mul_f64 v[6:7], v[74:75], v[8:9]
	v_mul_f64 v[4:5], v[74:75], v[10:11]
	v_fma_f64 v[6:7], v[72:73], v[10:11], -v[6:7]
	s_waitcnt lgkmcnt(6)
	v_mul_f64 v[10:11], v[70:71], v[12:13]
	v_fmac_f64_e32 v[4:5], v[72:73], v[8:9]
	v_mul_f64 v[8:9], v[70:71], v[14:15]
	v_fma_f64 v[10:11], v[68:69], v[14:15], -v[10:11]
	s_waitcnt lgkmcnt(5)
	v_mul_f64 v[14:15], v[66:67], v[16:17]
	v_fmac_f64_e32 v[8:9], v[68:69], v[12:13]
	;; [unrolled: 5-line block ×7, first 2 shown]
	v_mul_f64 v[32:33], v[98:99], v[38:39]
	v_fma_f64 v[34:35], v[96:97], v[38:39], -v[34:35]
	v_add_f64 v[38:39], v[12:13], v[20:21]
	v_fma_f64 v[38:39], -0.5, v[38:39], v[0:1]
	v_add_f64 v[44:45], v[6:7], -v[30:31]
	v_fma_f64 v[46:47], s[16:17], v[44:45], v[38:39]
	v_add_f64 v[48:49], v[14:15], -v[22:23]
	v_add_f64 v[50:51], v[4:5], -v[12:13]
	;; [unrolled: 1-line block ×3, first 2 shown]
	v_fmac_f64_e32 v[38:39], s[10:11], v[44:45]
	v_fmac_f64_e32 v[46:47], s[18:19], v[48:49]
	v_add_f64 v[50:51], v[50:51], v[52:53]
	v_fmac_f64_e32 v[38:39], s[0:1], v[48:49]
	v_fmac_f64_e32 v[46:47], s[14:15], v[50:51]
	;; [unrolled: 1-line block ×3, first 2 shown]
	v_add_f64 v[50:51], v[4:5], v[28:29]
	v_fmac_f64_e32 v[32:33], v[96:97], v[36:37]
	v_add_f64 v[36:37], v[0:1], v[4:5]
	v_fmac_f64_e32 v[0:1], -0.5, v[50:51]
	v_add_f64 v[36:37], v[36:37], v[12:13]
	v_fma_f64 v[50:51], s[10:11], v[48:49], v[0:1]
	v_add_f64 v[52:53], v[12:13], -v[4:5]
	v_add_f64 v[54:55], v[20:21], -v[28:29]
	v_fmac_f64_e32 v[0:1], s[16:17], v[48:49]
	v_add_f64 v[48:49], v[14:15], v[22:23]
	v_add_f64 v[36:37], v[36:37], v[20:21]
	v_fmac_f64_e32 v[50:51], s[18:19], v[44:45]
	v_add_f64 v[52:53], v[52:53], v[54:55]
	v_fmac_f64_e32 v[0:1], s[0:1], v[44:45]
	v_fma_f64 v[48:49], -0.5, v[48:49], v[2:3]
	v_add_f64 v[4:5], v[4:5], -v[28:29]
	v_add_f64 v[36:37], v[36:37], v[28:29]
	v_fmac_f64_e32 v[50:51], s[14:15], v[52:53]
	v_fmac_f64_e32 v[0:1], s[14:15], v[52:53]
	v_fma_f64 v[52:53], s[10:11], v[4:5], v[48:49]
	v_add_f64 v[12:13], v[12:13], -v[20:21]
	v_add_f64 v[20:21], v[6:7], -v[14:15]
	;; [unrolled: 1-line block ×3, first 2 shown]
	v_fmac_f64_e32 v[48:49], s[16:17], v[4:5]
	v_fmac_f64_e32 v[52:53], s[0:1], v[12:13]
	v_add_f64 v[20:21], v[20:21], v[28:29]
	v_fmac_f64_e32 v[48:49], s[18:19], v[12:13]
	v_fmac_f64_e32 v[52:53], s[14:15], v[20:21]
	;; [unrolled: 1-line block ×3, first 2 shown]
	v_add_f64 v[20:21], v[6:7], v[30:31]
	v_add_f64 v[44:45], v[2:3], v[6:7]
	v_fmac_f64_e32 v[2:3], -0.5, v[20:21]
	v_fma_f64 v[54:55], s[16:17], v[12:13], v[2:3]
	v_fmac_f64_e32 v[2:3], s[10:11], v[12:13]
	v_fmac_f64_e32 v[54:55], s[0:1], v[4:5]
	;; [unrolled: 1-line block ×3, first 2 shown]
	v_add_f64 v[4:5], v[40:41], v[8:9]
	v_add_f64 v[4:5], v[4:5], v[16:17]
	;; [unrolled: 1-line block ×4, first 2 shown]
	v_add_f64 v[6:7], v[14:15], -v[6:7]
	v_add_f64 v[14:15], v[22:23], -v[30:31]
	v_add_f64 v[28:29], v[4:5], v[32:33]
	v_add_f64 v[4:5], v[16:17], v[24:25]
	;; [unrolled: 1-line block ×4, first 2 shown]
	v_fma_f64 v[22:23], -0.5, v[4:5], v[40:41]
	v_add_f64 v[4:5], v[10:11], -v[34:35]
	v_fmac_f64_e32 v[54:55], s[14:15], v[6:7]
	v_fmac_f64_e32 v[2:3], s[14:15], v[6:7]
	v_fma_f64 v[14:15], s[16:17], v[4:5], v[22:23]
	v_add_f64 v[6:7], v[18:19], -v[26:27]
	v_add_f64 v[12:13], v[8:9], -v[16:17]
	;; [unrolled: 1-line block ×3, first 2 shown]
	v_fmac_f64_e32 v[22:23], s[10:11], v[4:5]
	v_fmac_f64_e32 v[14:15], s[18:19], v[6:7]
	v_add_f64 v[12:13], v[12:13], v[20:21]
	v_fmac_f64_e32 v[22:23], s[0:1], v[6:7]
	v_fmac_f64_e32 v[14:15], s[14:15], v[12:13]
	;; [unrolled: 1-line block ×3, first 2 shown]
	v_add_f64 v[12:13], v[8:9], v[32:33]
	v_fmac_f64_e32 v[40:41], -0.5, v[12:13]
	v_add_f64 v[44:45], v[44:45], v[30:31]
	v_fma_f64 v[30:31], s[10:11], v[6:7], v[40:41]
	v_fmac_f64_e32 v[40:41], s[16:17], v[6:7]
	v_fmac_f64_e32 v[30:31], s[18:19], v[4:5]
	v_fmac_f64_e32 v[40:41], s[0:1], v[4:5]
	v_add_f64 v[4:5], v[42:43], v[10:11]
	v_add_f64 v[4:5], v[4:5], v[18:19]
	;; [unrolled: 1-line block ×3, first 2 shown]
	v_add_f64 v[12:13], v[16:17], -v[8:9]
	v_add_f64 v[20:21], v[24:25], -v[32:33]
	v_add_f64 v[56:57], v[4:5], v[34:35]
	v_add_f64 v[4:5], v[18:19], v[26:27]
	;; [unrolled: 1-line block ×3, first 2 shown]
	v_fma_f64 v[58:59], -0.5, v[4:5], v[42:43]
	v_add_f64 v[4:5], v[8:9], -v[32:33]
	v_fmac_f64_e32 v[30:31], s[14:15], v[12:13]
	v_fmac_f64_e32 v[40:41], s[14:15], v[12:13]
	v_fma_f64 v[32:33], s[10:11], v[4:5], v[58:59]
	v_add_f64 v[6:7], v[16:17], -v[24:25]
	v_add_f64 v[8:9], v[10:11], -v[18:19]
	;; [unrolled: 1-line block ×3, first 2 shown]
	v_fmac_f64_e32 v[58:59], s[16:17], v[4:5]
	v_fmac_f64_e32 v[32:33], s[0:1], v[6:7]
	v_add_f64 v[8:9], v[8:9], v[12:13]
	v_fmac_f64_e32 v[58:59], s[18:19], v[6:7]
	v_fmac_f64_e32 v[32:33], s[14:15], v[8:9]
	v_fmac_f64_e32 v[58:59], s[14:15], v[8:9]
	v_add_f64 v[8:9], v[10:11], v[34:35]
	v_fmac_f64_e32 v[42:43], -0.5, v[8:9]
	v_fma_f64 v[24:25], s[16:17], v[6:7], v[42:43]
	v_add_f64 v[8:9], v[18:19], -v[10:11]
	v_add_f64 v[10:11], v[26:27], -v[34:35]
	v_fmac_f64_e32 v[42:43], s[10:11], v[6:7]
	v_add_f64 v[8:9], v[8:9], v[10:11]
	v_fmac_f64_e32 v[42:43], s[18:19], v[4:5]
	v_fmac_f64_e32 v[24:25], s[0:1], v[4:5]
	;; [unrolled: 1-line block ×4, first 2 shown]
	v_mul_f64 v[60:61], v[42:43], s[16:17]
	v_mul_f64 v[42:43], v[42:43], s[22:23]
	;; [unrolled: 1-line block ×4, first 2 shown]
	v_fmac_f64_e32 v[60:61], s[22:23], v[40:41]
	v_mul_f64 v[62:63], v[58:59], s[18:19]
	v_mul_f64 v[64:65], v[32:33], s[20:21]
	;; [unrolled: 1-line block ×3, first 2 shown]
	v_fmac_f64_e32 v[42:43], s[10:11], v[40:41]
	v_mul_f64 v[40:41], v[58:59], s[24:25]
	v_add_f64 v[4:5], v[36:37], v[28:29]
	v_fmac_f64_e32 v[26:27], s[20:21], v[14:15]
	v_fmac_f64_e32 v[34:35], s[14:15], v[30:31]
	;; [unrolled: 1-line block ×3, first 2 shown]
	v_add_f64 v[6:7], v[44:45], v[56:57]
	v_fmac_f64_e32 v[64:65], s[0:1], v[14:15]
	v_fmac_f64_e32 v[66:67], s[10:11], v[30:31]
	;; [unrolled: 1-line block ×3, first 2 shown]
	v_add_f64 v[8:9], v[46:47], v[26:27]
	v_add_f64 v[12:13], v[50:51], v[34:35]
	;; [unrolled: 1-line block ×8, first 2 shown]
	v_add_f64 v[24:25], v[36:37], -v[28:29]
	v_add_f64 v[28:29], v[46:47], -v[26:27]
	;; [unrolled: 1-line block ×10, first 2 shown]
	ds_write_b128 v192, v[4:7]
	ds_write_b128 v192, v[8:11] offset:2720
	ds_write_b128 v192, v[12:15] offset:5440
	;; [unrolled: 1-line block ×9, first 2 shown]
	s_waitcnt lgkmcnt(0)
	s_barrier
	s_and_b64 exec, exec, s[2:3]
	s_cbranch_execz .LBB0_15
; %bb.14:
	global_load_dwordx4 v[0:3], v192, s[8:9]
	v_mad_u64_u32 v[14:15], s[0:1], s6, v254, 0
	ds_read_b128 v[4:7], v192
	ds_read_b128 v[8:11], v192 offset:1600
	ds_read_b128 v[18:21], v192 offset:25600
	v_mov_b32_e32 v22, v15
	v_mad_u64_u32 v[16:17], s[2:3], s4, v193, 0
	v_mad_u64_u32 v[22:23], s[2:3], s7, v254, v[22:23]
	v_mov_b32_e32 v12, s12
	v_mov_b32_e32 v13, s13
	;; [unrolled: 1-line block ×4, first 2 shown]
	s_mov_b32 s0, 0xace01346
	v_mad_u64_u32 v[24:25], s[2:3], s5, v193, v[24:25]
	v_lshl_add_u64 v[12:13], v[14:15], 4, v[12:13]
	s_mov_b32 s1, 0x3f434679
	v_mov_b32_e32 v17, v24
	v_lshl_add_u64 v[12:13], v[16:17], 4, v[12:13]
	v_mov_b32_e32 v24, 0x640
	s_mul_i32 s2, s5, 0x640
	v_mov_b32_e32 v193, 0
	s_movk_i32 s3, 0x1000
	s_waitcnt vmcnt(0) lgkmcnt(2)
	v_mul_f64 v[14:15], v[6:7], v[2:3]
	v_mul_f64 v[2:3], v[4:5], v[2:3]
	v_fmac_f64_e32 v[14:15], v[4:5], v[0:1]
	v_fma_f64 v[2:3], v[0:1], v[6:7], -v[2:3]
	v_mul_f64 v[0:1], v[14:15], s[0:1]
	v_mul_f64 v[2:3], v[2:3], s[0:1]
	global_store_dwordx4 v[12:13], v[0:3], off
	global_load_dwordx4 v[0:3], v192, s[8:9] offset:1600
	v_mad_u64_u32 v[12:13], s[6:7], s4, v24, v[12:13]
	v_add_u32_e32 v13, s2, v13
	v_lshl_add_u64 v[14:15], s[8:9], 0, v[192:193]
	v_add_co_u32_e32 v16, vcc, s3, v14
	s_movk_i32 s3, 0x2000
	s_nop 0
	v_addc_co_u32_e32 v17, vcc, 0, v15, vcc
	s_waitcnt vmcnt(0) lgkmcnt(1)
	v_mul_f64 v[4:5], v[10:11], v[2:3]
	v_mul_f64 v[2:3], v[8:9], v[2:3]
	v_fmac_f64_e32 v[4:5], v[8:9], v[0:1]
	v_fma_f64 v[2:3], v[0:1], v[10:11], -v[2:3]
	v_mul_f64 v[0:1], v[4:5], s[0:1]
	v_mul_f64 v[2:3], v[2:3], s[0:1]
	global_store_dwordx4 v[12:13], v[0:3], off
	global_load_dwordx4 v[0:3], v192, s[8:9] offset:3200
	ds_read_b128 v[4:7], v192 offset:3200
	ds_read_b128 v[8:11], v192 offset:4800
	v_mad_u64_u32 v[12:13], s[6:7], s4, v24, v[12:13]
	v_add_u32_e32 v13, s2, v13
	s_waitcnt vmcnt(0) lgkmcnt(1)
	v_mul_f64 v[22:23], v[6:7], v[2:3]
	v_mul_f64 v[2:3], v[4:5], v[2:3]
	v_fmac_f64_e32 v[22:23], v[4:5], v[0:1]
	v_fma_f64 v[2:3], v[0:1], v[6:7], -v[2:3]
	v_mul_f64 v[0:1], v[22:23], s[0:1]
	v_mul_f64 v[2:3], v[2:3], s[0:1]
	global_store_dwordx4 v[12:13], v[0:3], off
	global_load_dwordx4 v[0:3], v[16:17], off offset:704
	v_mad_u64_u32 v[12:13], s[6:7], s4, v24, v[12:13]
	v_add_u32_e32 v13, s2, v13
	s_waitcnt vmcnt(0) lgkmcnt(0)
	v_mul_f64 v[4:5], v[10:11], v[2:3]
	v_mul_f64 v[2:3], v[8:9], v[2:3]
	v_fmac_f64_e32 v[4:5], v[8:9], v[0:1]
	v_fma_f64 v[2:3], v[0:1], v[10:11], -v[2:3]
	v_mul_f64 v[0:1], v[4:5], s[0:1]
	v_mul_f64 v[2:3], v[2:3], s[0:1]
	global_store_dwordx4 v[12:13], v[0:3], off
	global_load_dwordx4 v[0:3], v[16:17], off offset:2304
	ds_read_b128 v[4:7], v192 offset:6400
	ds_read_b128 v[8:11], v192 offset:8000
	v_mad_u64_u32 v[12:13], s[6:7], s4, v24, v[12:13]
	v_add_u32_e32 v13, s2, v13
	s_waitcnt vmcnt(0) lgkmcnt(1)
	v_mul_f64 v[22:23], v[6:7], v[2:3]
	v_mul_f64 v[2:3], v[4:5], v[2:3]
	v_fmac_f64_e32 v[22:23], v[4:5], v[0:1]
	v_fma_f64 v[2:3], v[0:1], v[6:7], -v[2:3]
	v_mul_f64 v[0:1], v[22:23], s[0:1]
	v_mul_f64 v[2:3], v[2:3], s[0:1]
	global_store_dwordx4 v[12:13], v[0:3], off
	global_load_dwordx4 v[0:3], v[16:17], off offset:3904
	v_mad_u64_u32 v[12:13], s[6:7], s4, v24, v[12:13]
	v_add_co_u32_e32 v16, vcc, s3, v14
	v_add_u32_e32 v13, s2, v13
	s_nop 0
	v_addc_co_u32_e32 v17, vcc, 0, v15, vcc
	s_movk_i32 s3, 0x3000
	s_waitcnt vmcnt(0) lgkmcnt(0)
	v_mul_f64 v[4:5], v[10:11], v[2:3]
	v_mul_f64 v[2:3], v[8:9], v[2:3]
	v_fmac_f64_e32 v[4:5], v[8:9], v[0:1]
	v_fma_f64 v[2:3], v[0:1], v[10:11], -v[2:3]
	v_mul_f64 v[0:1], v[4:5], s[0:1]
	v_mul_f64 v[2:3], v[2:3], s[0:1]
	global_store_dwordx4 v[12:13], v[0:3], off
	global_load_dwordx4 v[0:3], v[16:17], off offset:1408
	ds_read_b128 v[4:7], v192 offset:9600
	ds_read_b128 v[8:11], v192 offset:11200
	v_mad_u64_u32 v[12:13], s[6:7], s4, v24, v[12:13]
	v_add_u32_e32 v13, s2, v13
	s_waitcnt vmcnt(0) lgkmcnt(1)
	v_mul_f64 v[22:23], v[6:7], v[2:3]
	v_mul_f64 v[2:3], v[4:5], v[2:3]
	v_fmac_f64_e32 v[22:23], v[4:5], v[0:1]
	v_fma_f64 v[2:3], v[0:1], v[6:7], -v[2:3]
	v_mul_f64 v[0:1], v[22:23], s[0:1]
	v_mul_f64 v[2:3], v[2:3], s[0:1]
	global_store_dwordx4 v[12:13], v[0:3], off
	global_load_dwordx4 v[0:3], v[16:17], off offset:3008
	v_mad_u64_u32 v[12:13], s[6:7], s4, v24, v[12:13]
	v_add_co_u32_e32 v16, vcc, s3, v14
	v_add_u32_e32 v13, s2, v13
	s_nop 0
	v_addc_co_u32_e32 v17, vcc, 0, v15, vcc
	s_movk_i32 s3, 0x4000
	s_waitcnt vmcnt(0) lgkmcnt(0)
	v_mul_f64 v[4:5], v[10:11], v[2:3]
	v_mul_f64 v[2:3], v[8:9], v[2:3]
	v_fmac_f64_e32 v[4:5], v[8:9], v[0:1]
	v_fma_f64 v[2:3], v[0:1], v[10:11], -v[2:3]
	v_mul_f64 v[0:1], v[4:5], s[0:1]
	v_mul_f64 v[2:3], v[2:3], s[0:1]
	global_store_dwordx4 v[12:13], v[0:3], off
	global_load_dwordx4 v[0:3], v[16:17], off offset:512
	ds_read_b128 v[4:7], v192 offset:12800
	ds_read_b128 v[8:11], v192 offset:14400
	v_mad_u64_u32 v[12:13], s[6:7], s4, v24, v[12:13]
	v_add_u32_e32 v13, s2, v13
	s_waitcnt vmcnt(0) lgkmcnt(1)
	v_mul_f64 v[22:23], v[6:7], v[2:3]
	v_mul_f64 v[2:3], v[4:5], v[2:3]
	v_fmac_f64_e32 v[22:23], v[4:5], v[0:1]
	v_fma_f64 v[2:3], v[0:1], v[6:7], -v[2:3]
	v_mul_f64 v[0:1], v[22:23], s[0:1]
	v_mul_f64 v[2:3], v[2:3], s[0:1]
	global_store_dwordx4 v[12:13], v[0:3], off
	global_load_dwordx4 v[0:3], v[16:17], off offset:2112
	v_mad_u64_u32 v[12:13], s[6:7], s4, v24, v[12:13]
	v_add_u32_e32 v13, s2, v13
	s_waitcnt vmcnt(0) lgkmcnt(0)
	v_mul_f64 v[4:5], v[10:11], v[2:3]
	v_mul_f64 v[2:3], v[8:9], v[2:3]
	v_fmac_f64_e32 v[4:5], v[8:9], v[0:1]
	v_fma_f64 v[2:3], v[0:1], v[10:11], -v[2:3]
	v_mul_f64 v[0:1], v[4:5], s[0:1]
	v_mul_f64 v[2:3], v[2:3], s[0:1]
	global_store_dwordx4 v[12:13], v[0:3], off
	global_load_dwordx4 v[0:3], v[16:17], off offset:3712
	ds_read_b128 v[4:7], v192 offset:16000
	ds_read_b128 v[8:11], v192 offset:17600
	v_mad_u64_u32 v[12:13], s[6:7], s4, v24, v[12:13]
	v_add_co_u32_e32 v16, vcc, s3, v14
	v_add_u32_e32 v13, s2, v13
	s_nop 0
	v_addc_co_u32_e32 v17, vcc, 0, v15, vcc
	s_movk_i32 s3, 0x5000
	s_waitcnt vmcnt(0) lgkmcnt(1)
	v_mul_f64 v[22:23], v[6:7], v[2:3]
	v_mul_f64 v[2:3], v[4:5], v[2:3]
	v_fmac_f64_e32 v[22:23], v[4:5], v[0:1]
	v_fma_f64 v[2:3], v[0:1], v[6:7], -v[2:3]
	v_mul_f64 v[0:1], v[22:23], s[0:1]
	v_mul_f64 v[2:3], v[2:3], s[0:1]
	global_store_dwordx4 v[12:13], v[0:3], off
	global_load_dwordx4 v[0:3], v[16:17], off offset:1216
	v_mad_u64_u32 v[12:13], s[6:7], s4, v24, v[12:13]
	v_add_u32_e32 v13, s2, v13
	s_waitcnt vmcnt(0) lgkmcnt(0)
	v_mul_f64 v[4:5], v[10:11], v[2:3]
	v_mul_f64 v[2:3], v[8:9], v[2:3]
	v_fmac_f64_e32 v[4:5], v[8:9], v[0:1]
	v_fma_f64 v[2:3], v[0:1], v[10:11], -v[2:3]
	v_mul_f64 v[0:1], v[4:5], s[0:1]
	v_mul_f64 v[2:3], v[2:3], s[0:1]
	global_store_dwordx4 v[12:13], v[0:3], off
	global_load_dwordx4 v[0:3], v[16:17], off offset:2816
	ds_read_b128 v[4:7], v192 offset:19200
	ds_read_b128 v[8:11], v192 offset:20800
	v_mad_u64_u32 v[12:13], s[6:7], s4, v24, v[12:13]
	v_add_co_u32_e32 v16, vcc, s3, v14
	v_add_u32_e32 v13, s2, v13
	s_nop 0
	v_addc_co_u32_e32 v17, vcc, 0, v15, vcc
	s_movk_i32 s3, 0x6000
	s_waitcnt vmcnt(0) lgkmcnt(1)
	v_mul_f64 v[22:23], v[6:7], v[2:3]
	v_mul_f64 v[2:3], v[4:5], v[2:3]
	v_fmac_f64_e32 v[22:23], v[4:5], v[0:1]
	v_fma_f64 v[2:3], v[0:1], v[6:7], -v[2:3]
	v_mul_f64 v[0:1], v[22:23], s[0:1]
	v_mul_f64 v[2:3], v[2:3], s[0:1]
	global_store_dwordx4 v[12:13], v[0:3], off
	global_load_dwordx4 v[0:3], v[16:17], off offset:320
	v_mad_u64_u32 v[12:13], s[6:7], s4, v24, v[12:13]
	v_add_u32_e32 v13, s2, v13
	s_waitcnt vmcnt(0) lgkmcnt(0)
	v_mul_f64 v[4:5], v[10:11], v[2:3]
	v_mul_f64 v[2:3], v[8:9], v[2:3]
	v_fmac_f64_e32 v[4:5], v[8:9], v[0:1]
	v_fma_f64 v[2:3], v[0:1], v[10:11], -v[2:3]
	v_mul_f64 v[0:1], v[4:5], s[0:1]
	v_mul_f64 v[2:3], v[2:3], s[0:1]
	global_store_dwordx4 v[12:13], v[0:3], off
	global_load_dwordx4 v[0:3], v[16:17], off offset:1920
	ds_read_b128 v[4:7], v192 offset:22400
	ds_read_b128 v[8:11], v192 offset:24000
	v_mad_u64_u32 v[12:13], s[6:7], s4, v24, v[12:13]
	v_add_u32_e32 v13, s2, v13
	s_waitcnt vmcnt(0) lgkmcnt(1)
	v_mul_f64 v[22:23], v[6:7], v[2:3]
	v_mul_f64 v[2:3], v[4:5], v[2:3]
	v_fmac_f64_e32 v[22:23], v[4:5], v[0:1]
	v_fma_f64 v[2:3], v[0:1], v[6:7], -v[2:3]
	v_mul_f64 v[0:1], v[22:23], s[0:1]
	v_mul_f64 v[2:3], v[2:3], s[0:1]
	global_store_dwordx4 v[12:13], v[0:3], off
	global_load_dwordx4 v[0:3], v[16:17], off offset:3520
	v_mad_u64_u32 v[6:7], s[6:7], s4, v24, v[12:13]
	v_add_co_u32_e32 v4, vcc, s3, v14
	v_add_u32_e32 v7, s2, v7
	s_nop 0
	v_addc_co_u32_e32 v5, vcc, 0, v15, vcc
	s_waitcnt vmcnt(0) lgkmcnt(0)
	v_mul_f64 v[12:13], v[10:11], v[2:3]
	v_mul_f64 v[2:3], v[8:9], v[2:3]
	v_fmac_f64_e32 v[12:13], v[8:9], v[0:1]
	v_fma_f64 v[2:3], v[0:1], v[10:11], -v[2:3]
	v_mul_f64 v[0:1], v[12:13], s[0:1]
	v_mul_f64 v[2:3], v[2:3], s[0:1]
	global_store_dwordx4 v[6:7], v[0:3], off
	global_load_dwordx4 v[0:3], v[4:5], off offset:1024
	v_mad_u64_u32 v[4:5], s[4:5], s4, v24, v[6:7]
	v_add_u32_e32 v5, s2, v5
	s_waitcnt vmcnt(0)
	v_mul_f64 v[6:7], v[20:21], v[2:3]
	v_mul_f64 v[2:3], v[18:19], v[2:3]
	v_fmac_f64_e32 v[6:7], v[18:19], v[0:1]
	v_fma_f64 v[2:3], v[0:1], v[20:21], -v[2:3]
	v_mul_f64 v[0:1], v[6:7], s[0:1]
	v_mul_f64 v[2:3], v[2:3], s[0:1]
	global_store_dwordx4 v[4:5], v[0:3], off
.LBB0_15:
	s_endpgm
	.section	.rodata,"a",@progbits
	.p2align	6, 0x0
	.amdhsa_kernel bluestein_single_back_len1700_dim1_dp_op_CI_CI
		.amdhsa_group_segment_fixed_size 27200
		.amdhsa_private_segment_fixed_size 0
		.amdhsa_kernarg_size 104
		.amdhsa_user_sgpr_count 2
		.amdhsa_user_sgpr_dispatch_ptr 0
		.amdhsa_user_sgpr_queue_ptr 0
		.amdhsa_user_sgpr_kernarg_segment_ptr 1
		.amdhsa_user_sgpr_dispatch_id 0
		.amdhsa_user_sgpr_kernarg_preload_length 0
		.amdhsa_user_sgpr_kernarg_preload_offset 0
		.amdhsa_user_sgpr_private_segment_size 0
		.amdhsa_uses_dynamic_stack 0
		.amdhsa_enable_private_segment 0
		.amdhsa_system_sgpr_workgroup_id_x 1
		.amdhsa_system_sgpr_workgroup_id_y 0
		.amdhsa_system_sgpr_workgroup_id_z 0
		.amdhsa_system_sgpr_workgroup_info 0
		.amdhsa_system_vgpr_workitem_id 0
		.amdhsa_next_free_vgpr 410
		.amdhsa_next_free_sgpr 62
		.amdhsa_accum_offset 256
		.amdhsa_reserve_vcc 1
		.amdhsa_float_round_mode_32 0
		.amdhsa_float_round_mode_16_64 0
		.amdhsa_float_denorm_mode_32 3
		.amdhsa_float_denorm_mode_16_64 3
		.amdhsa_dx10_clamp 1
		.amdhsa_ieee_mode 1
		.amdhsa_fp16_overflow 0
		.amdhsa_tg_split 0
		.amdhsa_exception_fp_ieee_invalid_op 0
		.amdhsa_exception_fp_denorm_src 0
		.amdhsa_exception_fp_ieee_div_zero 0
		.amdhsa_exception_fp_ieee_overflow 0
		.amdhsa_exception_fp_ieee_underflow 0
		.amdhsa_exception_fp_ieee_inexact 0
		.amdhsa_exception_int_div_zero 0
	.end_amdhsa_kernel
	.text
.Lfunc_end0:
	.size	bluestein_single_back_len1700_dim1_dp_op_CI_CI, .Lfunc_end0-bluestein_single_back_len1700_dim1_dp_op_CI_CI
                                        ; -- End function
	.section	.AMDGPU.csdata,"",@progbits
; Kernel info:
; codeLenInByte = 26964
; NumSgprs: 68
; NumVgprs: 256
; NumAgprs: 154
; TotalNumVgprs: 410
; ScratchSize: 0
; MemoryBound: 0
; FloatMode: 240
; IeeeMode: 1
; LDSByteSize: 27200 bytes/workgroup (compile time only)
; SGPRBlocks: 8
; VGPRBlocks: 51
; NumSGPRsForWavesPerEU: 68
; NumVGPRsForWavesPerEU: 410
; AccumOffset: 256
; Occupancy: 1
; WaveLimiterHint : 1
; COMPUTE_PGM_RSRC2:SCRATCH_EN: 0
; COMPUTE_PGM_RSRC2:USER_SGPR: 2
; COMPUTE_PGM_RSRC2:TRAP_HANDLER: 0
; COMPUTE_PGM_RSRC2:TGID_X_EN: 1
; COMPUTE_PGM_RSRC2:TGID_Y_EN: 0
; COMPUTE_PGM_RSRC2:TGID_Z_EN: 0
; COMPUTE_PGM_RSRC2:TIDIG_COMP_CNT: 0
; COMPUTE_PGM_RSRC3_GFX90A:ACCUM_OFFSET: 63
; COMPUTE_PGM_RSRC3_GFX90A:TG_SPLIT: 0
	.text
	.p2alignl 6, 3212836864
	.fill 256, 4, 3212836864
	.type	__hip_cuid_cd8dee73a7c6afd1,@object ; @__hip_cuid_cd8dee73a7c6afd1
	.section	.bss,"aw",@nobits
	.globl	__hip_cuid_cd8dee73a7c6afd1
__hip_cuid_cd8dee73a7c6afd1:
	.byte	0                               ; 0x0
	.size	__hip_cuid_cd8dee73a7c6afd1, 1

	.ident	"AMD clang version 19.0.0git (https://github.com/RadeonOpenCompute/llvm-project roc-6.4.0 25133 c7fe45cf4b819c5991fe208aaa96edf142730f1d)"
	.section	".note.GNU-stack","",@progbits
	.addrsig
	.addrsig_sym __hip_cuid_cd8dee73a7c6afd1
	.amdgpu_metadata
---
amdhsa.kernels:
  - .agpr_count:     154
    .args:
      - .actual_access:  read_only
        .address_space:  global
        .offset:         0
        .size:           8
        .value_kind:     global_buffer
      - .actual_access:  read_only
        .address_space:  global
        .offset:         8
        .size:           8
        .value_kind:     global_buffer
      - .actual_access:  read_only
        .address_space:  global
        .offset:         16
        .size:           8
        .value_kind:     global_buffer
      - .actual_access:  read_only
        .address_space:  global
        .offset:         24
        .size:           8
        .value_kind:     global_buffer
      - .actual_access:  read_only
        .address_space:  global
        .offset:         32
        .size:           8
        .value_kind:     global_buffer
      - .offset:         40
        .size:           8
        .value_kind:     by_value
      - .address_space:  global
        .offset:         48
        .size:           8
        .value_kind:     global_buffer
      - .address_space:  global
        .offset:         56
        .size:           8
        .value_kind:     global_buffer
      - .address_space:  global
        .offset:         64
        .size:           8
        .value_kind:     global_buffer
      - .address_space:  global
        .offset:         72
        .size:           8
        .value_kind:     global_buffer
      - .offset:         80
        .size:           4
        .value_kind:     by_value
      - .address_space:  global
        .offset:         88
        .size:           8
        .value_kind:     global_buffer
      - .address_space:  global
        .offset:         96
        .size:           8
        .value_kind:     global_buffer
    .group_segment_fixed_size: 27200
    .kernarg_segment_align: 8
    .kernarg_segment_size: 104
    .language:       OpenCL C
    .language_version:
      - 2
      - 0
    .max_flat_workgroup_size: 170
    .name:           bluestein_single_back_len1700_dim1_dp_op_CI_CI
    .private_segment_fixed_size: 0
    .sgpr_count:     68
    .sgpr_spill_count: 0
    .symbol:         bluestein_single_back_len1700_dim1_dp_op_CI_CI.kd
    .uniform_work_group_size: 1
    .uses_dynamic_stack: false
    .vgpr_count:     410
    .vgpr_spill_count: 0
    .wavefront_size: 64
amdhsa.target:   amdgcn-amd-amdhsa--gfx950
amdhsa.version:
  - 1
  - 2
...

	.end_amdgpu_metadata
